;; amdgpu-corpus repo=ROCm/rocFFT kind=compiled arch=gfx950 opt=O3
	.text
	.amdgcn_target "amdgcn-amd-amdhsa--gfx950"
	.amdhsa_code_object_version 6
	.protected	fft_rtc_fwd_len289_factors_17_17_wgs_119_tpt_17_sp_op_CI_CI_sbcc_twdbase8_2step_dirReg_intrinsicRead ; -- Begin function fft_rtc_fwd_len289_factors_17_17_wgs_119_tpt_17_sp_op_CI_CI_sbcc_twdbase8_2step_dirReg_intrinsicRead
	.globl	fft_rtc_fwd_len289_factors_17_17_wgs_119_tpt_17_sp_op_CI_CI_sbcc_twdbase8_2step_dirReg_intrinsicRead
	.p2align	8
	.type	fft_rtc_fwd_len289_factors_17_17_wgs_119_tpt_17_sp_op_CI_CI_sbcc_twdbase8_2step_dirReg_intrinsicRead,@function
fft_rtc_fwd_len289_factors_17_17_wgs_119_tpt_17_sp_op_CI_CI_sbcc_twdbase8_2step_dirReg_intrinsicRead: ; @fft_rtc_fwd_len289_factors_17_17_wgs_119_tpt_17_sp_op_CI_CI_sbcc_twdbase8_2step_dirReg_intrinsicRead
; %bb.0:
	s_load_dwordx4 s[20:23], s[0:1], 0x18
	s_load_dwordx2 s[30:31], s[0:1], 0x28
	v_mov_b32_e32 v4, v0
	s_mov_b32 s3, 0
	s_mov_b64 s[26:27], 0
	s_waitcnt lgkmcnt(0)
	s_load_dwordx2 s[28:29], s[20:21], 0x8
	s_waitcnt lgkmcnt(0)
	s_add_u32 s4, s28, -1
	s_addc_u32 s5, s29, -1
	s_add_u32 s6, 0, 0x92481000
	s_addc_u32 s7, 0, 0x64
	s_mul_hi_u32 s9, s6, -7
	s_add_i32 s7, s7, 0x249248c0
	s_sub_i32 s9, s9, s6
	s_mul_i32 s12, s7, -7
	s_mul_i32 s8, s6, -7
	s_add_i32 s9, s9, s12
	s_mul_hi_u32 s10, s7, s8
	s_mul_i32 s11, s7, s8
	s_mul_i32 s13, s6, s9
	s_mul_hi_u32 s8, s6, s8
	s_mul_hi_u32 s12, s6, s9
	s_add_u32 s8, s8, s13
	s_addc_u32 s12, 0, s12
	s_add_u32 s8, s8, s11
	s_mul_hi_u32 s13, s7, s9
	s_addc_u32 s8, s12, s10
	s_addc_u32 s10, s13, 0
	s_mul_i32 s9, s7, s9
	s_add_u32 s8, s8, s9
	v_mov_b32_e32 v0, s8
	s_addc_u32 s9, 0, s10
	v_add_co_u32_e32 v0, vcc, s6, v0
	s_cmp_lg_u64 vcc, 0
	s_addc_u32 s6, s7, s9
	v_readfirstlane_b32 s9, v0
	s_mul_i32 s8, s4, s6
	s_mul_hi_u32 s10, s4, s9
	s_mul_hi_u32 s7, s4, s6
	s_add_u32 s8, s10, s8
	s_addc_u32 s7, 0, s7
	s_mul_hi_u32 s11, s5, s9
	s_mul_i32 s9, s5, s9
	s_add_u32 s8, s8, s9
	s_mul_hi_u32 s10, s5, s6
	s_addc_u32 s7, s7, s11
	s_addc_u32 s8, s10, 0
	s_mul_i32 s6, s5, s6
	s_add_u32 s6, s7, s6
	s_addc_u32 s7, 0, s8
	s_add_u32 s8, s6, 1
	s_addc_u32 s9, s7, 0
	s_add_u32 s10, s6, 2
	s_mul_i32 s12, s7, 7
	s_mul_hi_u32 s13, s6, 7
	s_addc_u32 s11, s7, 0
	s_add_i32 s13, s13, s12
	s_mul_i32 s12, s6, 7
	v_mov_b32_e32 v0, s12
	v_sub_co_u32_e32 v0, vcc, s4, v0
	s_cmp_lg_u64 vcc, 0
	s_subb_u32 s4, s5, s13
	v_subrev_co_u32_e32 v1, vcc, 7, v0
	s_cmp_lg_u64 vcc, 0
	s_subb_u32 s5, s4, 0
	v_readfirstlane_b32 s12, v1
	s_cmp_gt_u32 s12, 6
	s_cselect_b32 s12, -1, 0
	s_cmp_eq_u32 s5, 0
	s_cselect_b32 s5, s12, -1
	s_cmp_lg_u32 s5, 0
	s_cselect_b32 s5, s10, s8
	s_cselect_b32 s8, s11, s9
	v_readfirstlane_b32 s9, v0
	s_cmp_gt_u32 s9, 6
	s_cselect_b32 s9, -1, 0
	s_cmp_eq_u32 s4, 0
	s_cselect_b32 s4, s9, -1
	s_cmp_lg_u32 s4, 0
	s_cselect_b32 s5, s5, s6
	s_cselect_b32 s4, s8, s7
	s_add_u32 s34, s5, 1
	s_addc_u32 s35, s4, 0
	v_mov_b64_e32 v[2:3], s[34:35]
	v_cmp_lt_u64_e32 vcc, s[2:3], v[2:3]
	s_cbranch_vccnz .LBB0_2
; %bb.1:
	v_cvt_f32_u32_e32 v0, s34
	s_sub_i32 s4, 0, s34
	s_mov_b32 s27, s3
	v_rcp_iflag_f32_e32 v0, v0
	s_nop 0
	v_mul_f32_e32 v0, 0x4f7ffffe, v0
	v_cvt_u32_f32_e32 v0, v0
	s_nop 0
	v_readfirstlane_b32 s5, v0
	s_mul_i32 s4, s4, s5
	s_mul_hi_u32 s4, s5, s4
	s_add_i32 s5, s5, s4
	s_mul_hi_u32 s4, s2, s5
	s_mul_i32 s6, s4, s34
	s_sub_i32 s6, s2, s6
	s_add_i32 s5, s4, 1
	s_sub_i32 s7, s6, s34
	s_cmp_ge_u32 s6, s34
	s_cselect_b32 s4, s5, s4
	s_cselect_b32 s6, s7, s6
	s_add_i32 s5, s4, 1
	s_cmp_ge_u32 s6, s34
	s_cselect_b32 s26, s5, s4
.LBB0_2:
	s_load_dwordx4 s[8:11], s[0:1], 0x60
	s_load_dwordx4 s[16:19], s[22:23], 0x0
	;; [unrolled: 1-line block ×3, first 2 shown]
	s_load_dwordx2 s[52:53], s[0:1], 0x0
	s_load_dwordx4 s[12:15], s[0:1], 0x8
	s_mul_i32 s0, s26, s35
	s_mul_hi_u32 s1, s26, s34
	s_add_i32 s1, s1, s0
	s_mul_i32 s0, s26, s34
	s_sub_u32 s0, s2, s0
	s_subb_u32 s1, 0, s1
	s_mul_i32 s1, s1, 7
	s_waitcnt lgkmcnt(0)
	s_mul_hi_u32 s17, s0, 7
	s_add_i32 s37, s17, s1
	s_mul_i32 s36, s0, 7
	s_mul_i32 s0, s18, s37
	s_mul_hi_u32 s1, s18, s36
	s_add_i32 s0, s1, s0
	s_mul_i32 s1, s19, s36
	s_add_i32 s19, s0, s1
	s_mul_i32 s0, s6, s37
	s_mul_hi_u32 s1, s6, s36
	s_add_i32 s0, s1, s0
	s_mul_i32 s1, s7, s36
	s_add_i32 s25, s0, s1
	v_cmp_lt_u64_e64 s[0:1], s[14:15], 3
	s_mul_i32 s17, s18, s36
	s_mul_i32 s24, s6, s36
	s_and_b64 vcc, exec, s[0:1]
	s_cbranch_vccnz .LBB0_12
; %bb.3:
	s_add_u32 s38, s30, 16
	s_addc_u32 s39, s31, 0
	s_add_u32 s40, s22, 16
	s_addc_u32 s41, s23, 0
	s_add_u32 s20, s20, 16
	s_addc_u32 s21, s21, 0
	s_mov_b64 s[42:43], 2
	s_mov_b32 s44, 0
	v_mov_b64_e32 v[2:3], s[14:15]
.LBB0_4:                                ; =>This Inner Loop Header: Depth=1
	s_load_dwordx2 s[46:47], s[20:21], 0x0
	s_waitcnt lgkmcnt(0)
	s_or_b64 s[0:1], s[26:27], s[46:47]
	s_mov_b32 s45, s1
	s_cmp_lg_u64 s[44:45], 0
	s_cbranch_scc0 .LBB0_9
; %bb.5:                                ;   in Loop: Header=BB0_4 Depth=1
	v_cvt_f32_u32_e32 v0, s46
	v_cvt_f32_u32_e32 v1, s47
	s_sub_u32 s0, 0, s46
	s_subb_u32 s1, 0, s47
	v_fmac_f32_e32 v0, 0x4f800000, v1
	v_rcp_f32_e32 v0, v0
	s_nop 0
	v_mul_f32_e32 v0, 0x5f7ffffc, v0
	v_mul_f32_e32 v1, 0x2f800000, v0
	v_trunc_f32_e32 v1, v1
	v_fmac_f32_e32 v0, 0xcf800000, v1
	v_cvt_u32_f32_e32 v1, v1
	v_cvt_u32_f32_e32 v0, v0
	v_readfirstlane_b32 s33, v1
	v_readfirstlane_b32 s45, v0
	s_mul_i32 s48, s0, s33
	s_mul_hi_u32 s50, s0, s45
	s_mul_i32 s49, s1, s45
	s_add_i32 s48, s50, s48
	s_mul_i32 s51, s0, s45
	s_add_i32 s48, s48, s49
	s_mul_hi_u32 s49, s45, s48
	s_mul_i32 s50, s45, s48
	s_mul_hi_u32 s45, s45, s51
	s_add_u32 s45, s45, s50
	s_addc_u32 s49, 0, s49
	s_mul_hi_u32 s54, s33, s51
	s_mul_i32 s51, s33, s51
	s_add_u32 s45, s45, s51
	s_mul_hi_u32 s50, s33, s48
	s_addc_u32 s45, s49, s54
	s_addc_u32 s49, s50, 0
	s_mul_i32 s48, s33, s48
	s_add_u32 s45, s45, s48
	s_addc_u32 s48, 0, s49
	v_add_co_u32_e32 v0, vcc, s45, v0
	s_cmp_lg_u64 vcc, 0
	s_addc_u32 s33, s33, s48
	v_readfirstlane_b32 s48, v0
	s_mul_i32 s45, s0, s33
	s_mul_hi_u32 s49, s0, s48
	s_add_i32 s45, s49, s45
	s_mul_i32 s1, s1, s48
	s_add_i32 s45, s45, s1
	s_mul_i32 s0, s0, s48
	s_mul_hi_u32 s49, s33, s0
	s_mul_i32 s50, s33, s0
	s_mul_i32 s54, s48, s45
	s_mul_hi_u32 s0, s48, s0
	s_mul_hi_u32 s51, s48, s45
	s_add_u32 s0, s0, s54
	s_addc_u32 s48, 0, s51
	s_add_u32 s0, s0, s50
	s_mul_hi_u32 s1, s33, s45
	s_addc_u32 s0, s48, s49
	s_addc_u32 s1, s1, 0
	s_mul_i32 s45, s33, s45
	s_add_u32 s0, s0, s45
	s_addc_u32 s1, 0, s1
	v_add_co_u32_e32 v0, vcc, s0, v0
	s_cmp_lg_u64 vcc, 0
	s_addc_u32 s0, s33, s1
	v_readfirstlane_b32 s45, v0
	s_mul_i32 s33, s26, s0
	s_mul_hi_u32 s48, s26, s45
	s_mul_hi_u32 s1, s26, s0
	s_add_u32 s33, s48, s33
	s_addc_u32 s1, 0, s1
	s_mul_hi_u32 s49, s27, s45
	s_mul_i32 s45, s27, s45
	s_add_u32 s33, s33, s45
	s_mul_hi_u32 s48, s27, s0
	s_addc_u32 s1, s1, s49
	s_addc_u32 s33, s48, 0
	s_mul_i32 s0, s27, s0
	s_add_u32 s45, s1, s0
	s_addc_u32 s33, 0, s33
	s_mul_i32 s0, s46, s33
	s_mul_hi_u32 s1, s46, s45
	s_add_i32 s0, s1, s0
	s_mul_i32 s1, s47, s45
	s_add_i32 s48, s0, s1
	s_mul_i32 s1, s46, s45
	v_mov_b32_e32 v0, s1
	s_sub_i32 s0, s27, s48
	v_sub_co_u32_e32 v0, vcc, s26, v0
	s_cmp_lg_u64 vcc, 0
	s_subb_u32 s49, s0, s47
	v_subrev_co_u32_e64 v1, s[0:1], s46, v0
	s_cmp_lg_u64 s[0:1], 0
	s_subb_u32 s0, s49, 0
	s_cmp_ge_u32 s0, s47
	v_readfirstlane_b32 s49, v1
	s_cselect_b32 s1, -1, 0
	s_cmp_ge_u32 s49, s46
	s_cselect_b32 s49, -1, 0
	s_cmp_eq_u32 s0, s47
	s_cselect_b32 s0, s49, s1
	s_add_u32 s1, s45, 1
	s_addc_u32 s49, s33, 0
	s_add_u32 s50, s45, 2
	s_addc_u32 s51, s33, 0
	s_cmp_lg_u32 s0, 0
	s_cselect_b32 s0, s50, s1
	s_cselect_b32 s1, s51, s49
	s_cmp_lg_u64 vcc, 0
	s_subb_u32 s48, s27, s48
	s_cmp_ge_u32 s48, s47
	v_readfirstlane_b32 s50, v0
	s_cselect_b32 s49, -1, 0
	s_cmp_ge_u32 s50, s46
	s_cselect_b32 s50, -1, 0
	s_cmp_eq_u32 s48, s47
	s_cselect_b32 s48, s50, s49
	s_cmp_lg_u32 s48, 0
	s_cselect_b32 s1, s1, s33
	s_cselect_b32 s0, s0, s45
	s_cbranch_execnz .LBB0_7
.LBB0_6:                                ;   in Loop: Header=BB0_4 Depth=1
	v_cvt_f32_u32_e32 v0, s46
	s_sub_i32 s0, 0, s46
	v_rcp_iflag_f32_e32 v0, v0
	s_nop 0
	v_mul_f32_e32 v0, 0x4f7ffffe, v0
	v_cvt_u32_f32_e32 v0, v0
	s_nop 0
	v_readfirstlane_b32 s1, v0
	s_mul_i32 s0, s0, s1
	s_mul_hi_u32 s0, s1, s0
	s_add_i32 s1, s1, s0
	s_mul_hi_u32 s0, s26, s1
	s_mul_i32 s33, s0, s46
	s_sub_i32 s33, s26, s33
	s_add_i32 s1, s0, 1
	s_sub_i32 s45, s33, s46
	s_cmp_ge_u32 s33, s46
	s_cselect_b32 s0, s1, s0
	s_cselect_b32 s33, s45, s33
	s_add_i32 s1, s0, 1
	s_cmp_ge_u32 s33, s46
	s_cselect_b32 s0, s1, s0
	s_mov_b32 s1, s44
.LBB0_7:                                ;   in Loop: Header=BB0_4 Depth=1
	s_mul_i32 s33, s46, s35
	s_mul_hi_u32 s35, s46, s34
	s_add_i32 s33, s35, s33
	s_mul_i32 s35, s47, s34
	s_add_i32 s35, s33, s35
	s_mul_i32 s33, s0, s47
	s_mul_hi_u32 s45, s0, s46
	s_load_dwordx2 s[48:49], s[40:41], 0x0
	s_add_i32 s33, s45, s33
	s_mul_i32 s45, s1, s46
	s_add_i32 s33, s33, s45
	s_mul_i32 s45, s0, s46
	s_sub_u32 s45, s26, s45
	s_subb_u32 s33, s27, s33
	s_waitcnt lgkmcnt(0)
	s_mul_i32 s26, s48, s33
	s_mul_hi_u32 s27, s48, s45
	s_mul_i32 s34, s46, s34
	s_add_i32 s46, s27, s26
	s_load_dwordx2 s[26:27], s[38:39], 0x0
	s_mul_i32 s47, s49, s45
	s_add_i32 s46, s46, s47
	s_mul_i32 s47, s48, s45
	s_add_u32 s17, s47, s17
	s_addc_u32 s19, s46, s19
	s_waitcnt lgkmcnt(0)
	s_mul_i32 s33, s26, s33
	s_mul_hi_u32 s46, s26, s45
	s_add_i32 s33, s46, s33
	s_mul_i32 s27, s27, s45
	s_add_i32 s33, s33, s27
	s_mul_i32 s26, s26, s45
	s_add_u32 s24, s26, s24
	s_addc_u32 s25, s33, s25
	s_add_u32 s42, s42, 1
	s_addc_u32 s43, s43, 0
	;; [unrolled: 2-line block ×4, first 2 shown]
	s_add_u32 s20, s20, 8
	v_cmp_ge_u64_e32 vcc, s[42:43], v[2:3]
	s_addc_u32 s21, s21, 0
	s_cbranch_vccnz .LBB0_10
; %bb.8:                                ;   in Loop: Header=BB0_4 Depth=1
	s_mov_b64 s[26:27], s[0:1]
	s_branch .LBB0_4
.LBB0_9:                                ;   in Loop: Header=BB0_4 Depth=1
                                        ; implicit-def: $sgpr0_sgpr1
	s_branch .LBB0_6
.LBB0_10:
	v_mov_b64_e32 v[2:3], s[34:35]
	v_cmp_lt_u64_e32 vcc, s[2:3], v[2:3]
	s_mov_b64 s[26:27], 0
	s_cbranch_vccnz .LBB0_12
; %bb.11:
	v_cvt_f32_u32_e32 v0, s34
	s_sub_i32 s0, 0, s34
	v_rcp_iflag_f32_e32 v0, v0
	s_nop 0
	v_mul_f32_e32 v0, 0x4f7ffffe, v0
	v_cvt_u32_f32_e32 v0, v0
	s_nop 0
	v_readfirstlane_b32 s1, v0
	s_mul_i32 s0, s0, s1
	s_mul_hi_u32 s0, s1, s0
	s_add_i32 s1, s1, s0
	s_mul_hi_u32 s0, s2, s1
	s_mul_i32 s3, s0, s34
	s_sub_i32 s2, s2, s3
	s_add_i32 s1, s0, 1
	s_sub_i32 s3, s2, s34
	s_cmp_ge_u32 s2, s34
	s_cselect_b32 s0, s1, s0
	s_cselect_b32 s2, s3, s2
	s_add_i32 s1, s0, 1
	s_cmp_ge_u32 s2, s34
	s_cselect_b32 s26, s1, s0
.LBB0_12:
	s_lshl_b64 s[0:1], s[14:15], 3
	s_add_u32 s2, s22, s0
	s_addc_u32 s3, s23, s1
	s_load_dwordx2 s[2:3], s[2:3], 0x0
	v_mul_u32_u24_e32 v0, 0x2493, v4
	v_lshrrev_b32_e32 v1, 16, v0
	v_mul_lo_u16_e32 v0, 7, v1
	v_sub_u16_e32 v38, v4, v0
	s_waitcnt lgkmcnt(0)
	s_mul_i32 s2, s2, s26
	s_add_u32 s2, s2, s17
	s_add_u32 s64, s30, s0
	s_addc_u32 s65, s31, s1
	s_mov_b32 s0, 0
	v_mov_b32_e32 v39, s0
	s_add_u32 s0, s36, 7
	s_addc_u32 s1, s37, 0
	v_mov_b64_e32 v[2:3], s[28:29]
	v_lshl_add_u64 v[174:175], s[36:37], 0, v[38:39]
	v_cmp_le_u64_e32 vcc, s[0:1], v[2:3]
	v_mad_u64_u32 v[6:7], s[0:1], s18, v38, 0
	v_cmp_gt_u64_e64 s[0:1], s[28:29], v[174:175]
	v_accvgpr_write_b32 a0, v4
	s_or_b64 s[66:67], vcc, s[0:1]
	v_mov_b32_e32 v4, 0
	v_mov_b32_e32 v2, 0
	;; [unrolled: 1-line block ×3, first 2 shown]
	s_and_saveexec_b64 s[0:1], s[66:67]
	s_cbranch_execz .LBB0_14
; %bb.13:
	v_mul_lo_u32 v0, s16, v1
	v_add3_u32 v2, s2, v6, v0
	v_mov_b32_e32 v3, 0
	v_lshl_add_u64 v[2:3], v[2:3], 3, s[8:9]
	global_load_dwordx2 v[2:3], v[2:3], off
.LBB0_14:
	s_or_b64 exec, exec, s[0:1]
	v_mov_b32_e32 v5, 0
	s_and_saveexec_b64 s[0:1], s[66:67]
	s_cbranch_execz .LBB0_16
; %bb.15:
	v_add_u32_e32 v0, 17, v1
	v_mul_lo_u32 v0, s16, v0
	v_add3_u32 v4, s2, v6, v0
	v_mov_b32_e32 v5, 0
	v_lshl_add_u64 v[4:5], v[4:5], 3, s[8:9]
	global_load_dwordx2 v[4:5], v[4:5], off
.LBB0_16:
	s_or_b64 exec, exec, s[0:1]
	v_mov_b32_e32 v12, 0
	v_mov_b32_e32 v8, 0
	v_mov_b32_e32 v9, 0
	s_and_saveexec_b64 s[0:1], s[66:67]
	s_cbranch_execz .LBB0_18
; %bb.17:
	v_add_u32_e32 v0, 34, v1
	v_mul_lo_u32 v0, s16, v0
	v_add3_u32 v8, s2, v6, v0
	v_mov_b32_e32 v9, 0
	v_lshl_add_u64 v[8:9], v[8:9], 3, s[8:9]
	global_load_dwordx2 v[8:9], v[8:9], off
.LBB0_18:
	s_or_b64 exec, exec, s[0:1]
	v_mov_b32_e32 v13, 0
	s_and_saveexec_b64 s[0:1], s[66:67]
	s_cbranch_execz .LBB0_20
; %bb.19:
	v_add_u32_e32 v0, 51, v1
	v_mul_lo_u32 v0, s16, v0
	v_add3_u32 v10, s2, v6, v0
	v_mov_b32_e32 v11, 0
	v_lshl_add_u64 v[10:11], v[10:11], 3, s[8:9]
	global_load_dwordx2 v[12:13], v[10:11], off
.LBB0_20:
	s_or_b64 exec, exec, s[0:1]
	v_mov_b32_e32 v20, 0
	v_mov_b32_e32 v16, 0
	v_mov_b32_e32 v17, 0
	s_and_saveexec_b64 s[0:1], s[66:67]
	s_cbranch_execz .LBB0_22
; %bb.21:
	v_add_u32_e32 v0, 0x44, v1
	v_mul_lo_u32 v0, s16, v0
	v_add3_u32 v10, s2, v6, v0
	v_mov_b32_e32 v11, 0
	v_lshl_add_u64 v[10:11], v[10:11], 3, s[8:9]
	global_load_dwordx2 v[16:17], v[10:11], off
.LBB0_22:
	;; [unrolled: 26-line block ×7, first 2 shown]
	s_or_b64 exec, exec, s[0:1]
	v_mov_b32_e32 v11, 0
	s_and_saveexec_b64 s[0:1], s[66:67]
	s_cbranch_execz .LBB0_44
; %bb.43:
	v_add_u32_e32 v0, 0xff, v1
	v_mul_lo_u32 v0, s16, v0
	v_add3_u32 v10, s2, v6, v0
	v_mov_b32_e32 v11, 0
	v_lshl_add_u64 v[10:11], v[10:11], 3, s[8:9]
	global_load_dwordx2 v[10:11], v[10:11], off
.LBB0_44:
	s_or_b64 exec, exec, s[0:1]
	v_mov_b32_e32 v36, 0
	v_mov_b32_e32 v37, 0
	s_and_saveexec_b64 s[0:1], s[66:67]
	s_cbranch_execz .LBB0_46
; %bb.45:
	v_add_u32_e32 v0, 0x110, v1
	v_mul_lo_u32 v0, s16, v0
	v_add3_u32 v6, s2, v6, v0
	v_mov_b32_e32 v7, 0
	v_lshl_add_u64 v[6:7], v[6:7], 3, s[8:9]
	global_load_dwordx2 v[36:37], v[6:7], off
.LBB0_46:
	s_or_b64 exec, exec, s[0:1]
	s_waitcnt vmcnt(0)
	v_pk_add_f32 v[6:7], v[2:3], v[4:5]
	v_pk_add_f32 v[102:103], v[4:5], v[36:37] neg_lo:[0,1] neg_hi:[0,1]
	v_pk_add_f32 v[6:7], v[6:7], v[8:9]
	s_mov_b32 s34, 0xbeb8f4ab
	v_pk_add_f32 v[6:7], v[6:7], v[12:13]
	v_pk_add_f32 v[96:97], v[4:5], v[36:37]
	v_pk_add_f32 v[6:7], v[6:7], v[16:17]
	s_mov_b32 s2, 0x3f6eb680
	v_pk_add_f32 v[6:7], v[6:7], v[20:21]
	v_pk_add_f32 v[110:111], v[8:9], v[10:11] neg_lo:[0,1] neg_hi:[0,1]
	v_pk_add_f32 v[6:7], v[6:7], v[24:25]
	s_mov_b32 s46, 0xbf2c7751
	v_pk_add_f32 v[6:7], v[6:7], v[28:29]
	v_pk_add_f32 v[108:109], v[8:9], v[10:11]
	v_pk_add_f32 v[6:7], v[6:7], v[34:35]
	s_mov_b32 s0, 0x3f3d2fb0
	;; [unrolled: 8-line block ×3, first 2 shown]
	v_pk_add_f32 v[6:7], v[6:7], v[18:19]
	v_pk_add_f32 v[118:119], v[16:17], v[18:19] neg_lo:[0,1] neg_hi:[0,1]
	v_pk_add_f32 v[6:7], v[6:7], v[14:15]
	v_pk_mul_f32 v[14:15], v[114:115], s[50:51] op_sel_hi:[1,0]
	v_pk_add_f32 v[6:7], v[6:7], v[10:11]
	v_pk_mul_f32 v[10:11], v[110:111], s[46:47] op_sel_hi:[1,0]
	;; [unrolled: 2-line block ×3, first 2 shown]
	v_pk_fma_f32 v[8:9], v[108:109], s[0:1], v[10:11] op_sel:[0,0,1] op_sel_hi:[1,0,0] neg_lo:[0,0,1] neg_hi:[0,0,1]
	v_pk_fma_f32 v[36:37], v[96:97], s[2:3], v[6:7] op_sel:[0,0,1] op_sel_hi:[1,0,0] neg_lo:[0,0,1] neg_hi:[0,0,1]
	v_pk_fma_f32 v[6:7], v[96:97], s[2:3], v[6:7] op_sel:[0,0,1] op_sel_hi:[1,0,0]
	v_mov_b32_e32 v175, v37
	v_mov_b32_e32 v37, v7
	v_pk_fma_f32 v[10:11], v[108:109], s[0:1], v[10:11] op_sel:[0,0,1] op_sel_hi:[1,0,0]
	v_pk_add_f32 v[36:37], v[2:3], v[36:37]
	v_mov_b32_e32 v44, v8
	v_mov_b32_e32 v45, v11
	v_pk_add_f32 v[36:37], v[44:45], v[36:37]
	v_pk_fma_f32 v[44:45], v[112:113], s[8:9], v[14:15] op_sel:[0,0,1] op_sel_hi:[1,0,0] neg_lo:[0,0,1] neg_hi:[0,0,1]
	v_pk_fma_f32 v[14:15], v[112:113], s[8:9], v[14:15] op_sel:[0,0,1] op_sel_hi:[1,0,0]
	s_mov_b32 s36, 0xbf7ee86f
	v_accvgpr_write_b32 a1, v45
	v_mov_b32_e32 v45, v15
	v_pk_add_f32 v[116:117], v[16:17], v[18:19]
	s_mov_b32 s14, 0x3dbcf732
	v_pk_mul_f32 v[18:19], v[118:119], s[36:37] op_sel_hi:[1,0]
	v_pk_add_f32 v[36:37], v[44:45], v[36:37]
	v_pk_fma_f32 v[44:45], v[116:117], s[14:15], v[18:19] op_sel:[0,0,1] op_sel_hi:[1,0,0] neg_lo:[0,0,1] neg_hi:[0,0,1]
	v_pk_fma_f32 v[18:19], v[116:117], s[14:15], v[18:19] op_sel:[0,0,1] op_sel_hi:[1,0,0]
	v_pk_add_f32 v[122:123], v[20:21], v[22:23] neg_lo:[0,1] neg_hi:[0,1]
	s_mov_b32 s22, 0xbf763a35
	v_accvgpr_write_b32 a3, v45
	v_mov_b32_e32 v45, v19
	v_pk_add_f32 v[120:121], v[20:21], v[22:23]
	s_mov_b32 s16, 0xbe8c1d8e
	v_pk_mul_f32 v[22:23], v[122:123], s[22:23] op_sel_hi:[1,0]
	v_pk_add_f32 v[36:37], v[44:45], v[36:37]
	v_pk_fma_f32 v[44:45], v[120:121], s[16:17], v[22:23] op_sel:[0,0,1] op_sel_hi:[1,0,0] neg_lo:[0,0,1] neg_hi:[0,0,1]
	v_pk_fma_f32 v[22:23], v[120:121], s[16:17], v[22:23] op_sel:[0,0,1] op_sel_hi:[1,0,0]
	v_pk_add_f32 v[126:127], v[24:25], v[26:27] neg_lo:[0,1] neg_hi:[0,1]
	s_mov_b32 s28, 0xbf4c4adb
	v_accvgpr_write_b32 a5, v45
	v_mov_b32_e32 v45, v23
	v_pk_add_f32 v[124:125], v[24:25], v[26:27]
	s_mov_b32 s18, 0xbf1a4643
	v_pk_mul_f32 v[26:27], v[126:127], s[28:29] op_sel_hi:[1,0]
	v_pk_add_f32 v[130:131], v[28:29], v[30:31] neg_lo:[0,1] neg_hi:[0,1]
	s_mov_b32 s30, 0xbf06c442
	v_pk_add_f32 v[36:37], v[44:45], v[36:37]
	v_pk_fma_f32 v[44:45], v[124:125], s[18:19], v[26:27] op_sel:[0,0,1] op_sel_hi:[1,0,0] neg_lo:[0,0,1] neg_hi:[0,0,1]
	v_pk_fma_f32 v[26:27], v[124:125], s[18:19], v[26:27] op_sel:[0,0,1] op_sel_hi:[1,0,0]
	v_pk_add_f32 v[128:129], v[28:29], v[30:31]
	s_mov_b32 s20, 0xbf59a7d5
	v_pk_mul_f32 v[30:31], v[130:131], s[30:31] op_sel_hi:[1,0]
	v_pk_add_f32 v[134:135], v[34:35], v[32:33] neg_lo:[0,1] neg_hi:[0,1]
	s_mov_b32 s44, 0xbe3c28d5
	v_accvgpr_write_b32 a7, v45
	v_mov_b32_e32 v45, v27
	v_pk_fma_f32 v[28:29], v[128:129], s[20:21], v[30:31] op_sel:[0,0,1] op_sel_hi:[1,0,0] neg_lo:[0,0,1] neg_hi:[0,0,1]
	v_pk_fma_f32 v[30:31], v[128:129], s[20:21], v[30:31] op_sel:[0,0,1] op_sel_hi:[1,0,0]
	v_pk_add_f32 v[132:133], v[34:35], v[32:33]
	s_mov_b32 s40, 0xbf7ba420
	v_pk_mul_f32 v[34:35], v[134:135], s[44:45] op_sel_hi:[1,0]
	v_pk_add_f32 v[36:37], v[44:45], v[36:37]
	v_mov_b32_e32 v44, v28
	v_mov_b32_e32 v45, v31
	v_pk_fma_f32 v[32:33], v[132:133], s[40:41], v[34:35] op_sel:[0,0,1] op_sel_hi:[1,0,0] neg_lo:[0,0,1] neg_hi:[0,0,1]
	v_pk_fma_f32 v[34:35], v[132:133], s[40:41], v[34:35] op_sel:[0,0,1] op_sel_hi:[1,0,0]
	s_movk_i32 s1, 0x3b8
	v_pk_add_f32 v[36:37], v[44:45], v[36:37]
	v_mov_b32_e32 v44, v32
	v_mov_b32_e32 v45, v35
	v_mad_u32_u24 v28, v1, s1, 0
	v_pk_add_f32 v[36:37], v[44:45], v[36:37]
	v_lshl_add_u32 v8, v38, 3, v28
	ds_write2_b64 v8, v[42:43], v[36:37] offset1:7
	v_pk_mul_f32 v[36:37], v[102:103], s[46:47] op_sel_hi:[1,0]
	s_mov_b32 s60, 0x3f06c442
	v_pk_fma_f32 v[42:43], v[96:97], s[0:1], v[36:37] op_sel:[0,0,1] op_sel_hi:[1,0,0] neg_lo:[0,0,1] neg_hi:[0,0,1]
	v_pk_fma_f32 v[36:37], v[96:97], s[0:1], v[36:37] op_sel:[0,0,1] op_sel_hi:[1,0,0]
	v_mov_b32_e32 v44, v42
	v_mov_b32_e32 v45, v37
	v_pk_add_f32 v[48:49], v[2:3], v[44:45]
	v_pk_mul_f32 v[44:45], v[110:111], s[36:37] op_sel_hi:[1,0]
	s_mov_b32 s56, 0x3f763a35
	v_pk_fma_f32 v[24:25], v[108:109], s[14:15], v[44:45] op_sel:[0,0,1] op_sel_hi:[1,0,0] neg_lo:[0,0,1] neg_hi:[0,0,1]
	v_pk_fma_f32 v[44:45], v[108:109], s[14:15], v[44:45] op_sel:[0,0,1] op_sel_hi:[1,0,0]
	v_mov_b32_e32 v50, v24
	v_mov_b32_e32 v51, v45
	v_pk_add_f32 v[52:53], v[50:51], v[48:49]
	;; [unrolled: 7-line block ×8, first 2 shown]
	v_pk_mul_f32 v[72:73], v[102:103], s[50:51] op_sel_hi:[1,0]
	v_pk_mul_f32 v[206:207], v[110:111], s[56:57] op_sel_hi:[1,0]
	v_pk_fma_f32 v[74:75], v[96:97], s[8:9], v[72:73] op_sel:[0,0,1] op_sel_hi:[1,0,0] neg_lo:[0,0,1] neg_hi:[0,0,1]
	v_pk_fma_f32 v[72:73], v[96:97], s[8:9], v[72:73] op_sel:[0,0,1] op_sel_hi:[1,0,0]
	v_mov_b32_e32 v76, v74
	v_mov_b32_e32 v77, v73
	v_pk_add_f32 v[80:81], v[2:3], v[76:77]
	v_pk_mul_f32 v[76:77], v[110:111], s[28:29] op_sel_hi:[1,0]
	v_pk_fma_f32 v[208:209], v[108:109], s[16:17], v[206:207] op_sel:[0,0,1] op_sel_hi:[1,0,0] neg_lo:[0,0,1] neg_hi:[0,0,1]
	v_pk_fma_f32 v[20:21], v[108:109], s[18:19], v[76:77] op_sel:[0,0,1] op_sel_hi:[1,0,0] neg_lo:[0,0,1] neg_hi:[0,0,1]
	v_pk_fma_f32 v[76:77], v[108:109], s[18:19], v[76:77] op_sel:[0,0,1] op_sel_hi:[1,0,0]
	v_mov_b32_e32 v82, v20
	v_mov_b32_e32 v83, v77
	v_pk_add_f32 v[84:85], v[82:83], v[80:81]
	v_pk_mul_f32 v[82:83], v[114:115], s[62:63] op_sel_hi:[1,0]
	v_pk_fma_f32 v[206:207], v[108:109], s[16:17], v[206:207] op_sel:[0,0,1] op_sel_hi:[1,0,0]
	v_pk_fma_f32 v[80:81], v[112:113], s[40:41], v[82:83] op_sel:[0,0,1] op_sel_hi:[1,0,0] neg_lo:[0,0,1] neg_hi:[0,0,1]
	v_pk_fma_f32 v[82:83], v[112:113], s[40:41], v[82:83] op_sel:[0,0,1] op_sel_hi:[1,0,0]
	v_mov_b32_e32 v86, v80
	v_mov_b32_e32 v87, v83
	v_pk_add_f32 v[88:89], v[86:87], v[84:85]
	v_pk_mul_f32 v[86:87], v[118:119], s[56:57] op_sel_hi:[1,0]
	v_mov_b32_e32 v210, v208
	v_pk_fma_f32 v[84:85], v[116:117], s[16:17], v[86:87] op_sel:[0,0,1] op_sel_hi:[1,0,0] neg_lo:[0,0,1] neg_hi:[0,0,1]
	v_pk_fma_f32 v[86:87], v[116:117], s[16:17], v[86:87] op_sel:[0,0,1] op_sel_hi:[1,0,0]
	v_mov_b32_e32 v90, v84
	v_mov_b32_e32 v91, v87
	v_pk_add_f32 v[92:93], v[90:91], v[88:89]
	v_pk_mul_f32 v[90:91], v[122:123], s[48:49] op_sel_hi:[1,0]
	v_mov_b32_e32 v211, v207
	v_pk_fma_f32 v[88:89], v[120:121], s[0:1], v[90:91] op_sel:[0,0,1] op_sel_hi:[1,0,0] neg_lo:[0,0,1] neg_hi:[0,0,1]
	v_pk_fma_f32 v[90:91], v[120:121], s[0:1], v[90:91] op_sel:[0,0,1] op_sel_hi:[1,0,0]
	v_mov_b32_e32 v94, v88
	v_mov_b32_e32 v95, v91
	v_pk_add_f32 v[98:99], v[94:95], v[92:93]
	v_pk_mul_f32 v[94:95], v[126:127], s[34:35] op_sel_hi:[1,0]
	v_pk_mul_f32 v[240:241], v[110:111], s[38:39] op_sel_hi:[1,0]
	v_pk_fma_f32 v[92:93], v[124:125], s[2:3], v[94:95] op_sel:[0,0,1] op_sel_hi:[1,0,0] neg_lo:[0,0,1] neg_hi:[0,0,1]
	v_pk_fma_f32 v[94:95], v[124:125], s[2:3], v[94:95] op_sel:[0,0,1] op_sel_hi:[1,0,0]
	v_mov_b32_e32 v100, v92
	v_mov_b32_e32 v101, v95
	v_pk_add_f32 v[104:105], v[100:101], v[98:99]
	v_pk_mul_f32 v[100:101], v[130:131], s[36:37] op_sel_hi:[1,0]
	v_pk_fma_f32 v[242:243], v[108:109], s[8:9], v[240:241] op_sel:[0,0,1] op_sel_hi:[1,0,0] neg_lo:[0,0,1] neg_hi:[0,0,1]
	v_pk_fma_f32 v[98:99], v[128:129], s[14:15], v[100:101] op_sel:[0,0,1] op_sel_hi:[1,0,0] neg_lo:[0,0,1] neg_hi:[0,0,1]
	v_pk_fma_f32 v[100:101], v[128:129], s[14:15], v[100:101] op_sel:[0,0,1] op_sel_hi:[1,0,0]
	v_mov_b32_e32 v106, v98
	v_mov_b32_e32 v107, v101
	v_pk_add_f32 v[138:139], v[106:107], v[104:105]
	v_pk_mul_f32 v[106:107], v[134:135], s[30:31] op_sel_hi:[1,0]
	v_pk_fma_f32 v[240:241], v[108:109], s[8:9], v[240:241] op_sel:[0,0,1] op_sel_hi:[1,0,0]
	v_pk_fma_f32 v[104:105], v[132:133], s[20:21], v[106:107] op_sel:[0,0,1] op_sel_hi:[1,0,0] neg_lo:[0,0,1] neg_hi:[0,0,1]
	v_pk_fma_f32 v[106:107], v[132:133], s[20:21], v[106:107] op_sel:[0,0,1] op_sel_hi:[1,0,0]
	v_mov_b32_e32 v140, v104
	v_mov_b32_e32 v141, v107
	v_pk_add_f32 v[138:139], v[140:141], v[138:139]
	ds_write2_b64 v8, v[136:137], v[138:139] offset0:14 offset1:21
	v_pk_mul_f32 v[136:137], v[102:103], s[36:37] op_sel_hi:[1,0]
	v_mov_b32_e32 v244, v242
	v_pk_fma_f32 v[138:139], v[96:97], s[14:15], v[136:137] op_sel:[0,0,1] op_sel_hi:[1,0,0] neg_lo:[0,0,1] neg_hi:[0,0,1]
	v_pk_fma_f32 v[136:137], v[96:97], s[14:15], v[136:137] op_sel:[0,0,1] op_sel_hi:[1,0,0]
	v_mov_b32_e32 v140, v138
	v_mov_b32_e32 v141, v137
	v_pk_add_f32 v[144:145], v[2:3], v[140:141]
	v_pk_mul_f32 v[140:141], v[110:111], s[44:45] op_sel_hi:[1,0]
	v_mov_b32_e32 v245, v241
	v_pk_fma_f32 v[16:17], v[108:109], s[40:41], v[140:141] op_sel:[0,0,1] op_sel_hi:[1,0,0] neg_lo:[0,0,1] neg_hi:[0,0,1]
	v_pk_fma_f32 v[140:141], v[108:109], s[40:41], v[140:141] op_sel:[0,0,1] op_sel_hi:[1,0,0]
	v_mov_b32_e32 v146, v16
	v_mov_b32_e32 v147, v141
	v_pk_add_f32 v[148:149], v[146:147], v[144:145]
	;; [unrolled: 7-line block ×16, first 2 shown]
	ds_write2_b64 v8, v[196:197], v[198:199] offset0:28 offset1:35
	v_pk_mul_f32 v[196:197], v[102:103], s[28:29] op_sel_hi:[1,0]
	v_mov_b32_e32 v191, v189
	v_pk_fma_f32 v[198:199], v[96:97], s[18:19], v[196:197] op_sel:[0,0,1] op_sel_hi:[1,0,0] neg_lo:[0,0,1] neg_hi:[0,0,1]
	v_pk_fma_f32 v[196:197], v[96:97], s[18:19], v[196:197] op_sel:[0,0,1] op_sel_hi:[1,0,0]
	v_mov_b32_e32 v204, v198
	v_mov_b32_e32 v205, v197
	v_pk_add_f32 v[204:205], v[2:3], v[204:205]
	v_mov_b32_e32 v197, v199
	v_pk_add_f32 v[204:205], v[210:211], v[204:205]
	v_pk_mul_f32 v[210:211], v[114:115], s[34:35] op_sel_hi:[1,0]
	v_mov_b32_e32 v159, v157
	v_pk_fma_f32 v[212:213], v[112:113], s[2:3], v[210:211] op_sel:[0,0,1] op_sel_hi:[1,0,0] neg_lo:[0,0,1] neg_hi:[0,0,1]
	v_pk_fma_f32 v[210:211], v[112:113], s[2:3], v[210:211] op_sel:[0,0,1] op_sel_hi:[1,0,0]
	v_mov_b32_e32 v214, v212
	v_mov_b32_e32 v215, v211
	v_pk_add_f32 v[204:205], v[214:215], v[204:205]
	v_pk_mul_f32 v[214:215], v[118:119], s[30:31] op_sel_hi:[1,0]
	v_mov_b32_e32 v211, v213
	v_pk_fma_f32 v[216:217], v[116:117], s[20:21], v[214:215] op_sel:[0,0,1] op_sel_hi:[1,0,0] neg_lo:[0,0,1] neg_hi:[0,0,1]
	v_pk_fma_f32 v[214:215], v[116:117], s[20:21], v[214:215] op_sel:[0,0,1] op_sel_hi:[1,0,0]
	v_mov_b32_e32 v218, v216
	;; [unrolled: 7-line block ×7, first 2 shown]
	v_mov_b32_e32 v239, v235
	v_pk_add_f32 v[238:239], v[2:3], v[238:239]
	v_mov_b32_e32 v235, v237
	v_pk_add_f32 v[238:239], v[244:245], v[238:239]
	v_pk_mul_f32 v[244:245], v[114:115], s[36:37] op_sel_hi:[1,0]
	v_pk_mul_f32 v[114:115], v[114:115], s[30:31] op_sel_hi:[1,0]
	v_pk_fma_f32 v[246:247], v[112:113], s[14:15], v[244:245] op_sel:[0,0,1] op_sel_hi:[1,0,0] neg_lo:[0,0,1] neg_hi:[0,0,1]
	v_pk_fma_f32 v[244:245], v[112:113], s[14:15], v[244:245] op_sel:[0,0,1] op_sel_hi:[1,0,0]
	v_mov_b32_e32 v248, v246
	v_mov_b32_e32 v249, v245
	v_pk_add_f32 v[238:239], v[248:249], v[238:239]
	v_pk_mul_f32 v[248:249], v[118:119], s[58:59] op_sel_hi:[1,0]
	v_mov_b32_e32 v245, v247
	v_pk_fma_f32 v[250:251], v[116:117], s[18:19], v[248:249] op_sel:[0,0,1] op_sel_hi:[1,0,0] neg_lo:[0,0,1] neg_hi:[0,0,1]
	v_pk_fma_f32 v[248:249], v[116:117], s[18:19], v[248:249] op_sel:[0,0,1] op_sel_hi:[1,0,0]
	v_mov_b32_e32 v252, v250
	v_mov_b32_e32 v253, v249
	v_pk_add_f32 v[238:239], v[252:253], v[238:239]
	v_pk_mul_f32 v[252:253], v[122:123], s[34:35] op_sel_hi:[1,0]
	v_mov_b32_e32 v249, v251
	;; [unrolled: 7-line block ×5, first 2 shown]
	v_pk_fma_f32 v[46:47], v[132:133], s[16:17], v[40:41] op_sel:[0,0,1] op_sel_hi:[1,0,0] neg_lo:[0,0,1] neg_hi:[0,0,1]
	v_pk_fma_f32 v[40:41], v[132:133], s[16:17], v[40:41] op_sel:[0,0,1] op_sel_hi:[1,0,0]
	v_mov_b32_e32 v142, v46
	v_mov_b32_e32 v143, v41
	v_pk_add_f32 v[0:1], v[142:143], v[0:1]
	ds_write2_b64 v8, v[204:205], v[0:1] offset0:42 offset1:49
	v_pk_mul_f32 v[0:1], v[102:103], s[44:45] op_sel_hi:[1,0]
	v_pk_add_f32 v[4:5], v[2:3], v[196:197]
	v_pk_fma_f32 v[102:103], v[96:97], s[40:41], v[0:1] op_sel:[0,0,1] op_sel_hi:[1,0,0] neg_lo:[0,0,1] neg_hi:[0,0,1]
	v_pk_fma_f32 v[0:1], v[96:97], s[40:41], v[0:1] op_sel:[0,0,1] op_sel_hi:[1,0,0]
	v_pk_mul_f32 v[96:97], v[110:111], s[42:43] op_sel_hi:[1,0]
	v_pk_add_f32 v[4:5], v[206:207], v[4:5]
	v_pk_fma_f32 v[110:111], v[108:109], s[2:3], v[96:97] op_sel:[0,0,1] op_sel_hi:[1,0,0] neg_lo:[0,0,1] neg_hi:[0,0,1]
	v_pk_fma_f32 v[96:97], v[108:109], s[2:3], v[96:97] op_sel:[0,0,1] op_sel_hi:[1,0,0]
	v_mov_b32_e32 v108, v102
	v_mov_b32_e32 v109, v1
	v_pk_add_f32 v[108:109], v[2:3], v[108:109]
	v_mov_b32_e32 v142, v110
	v_mov_b32_e32 v143, v97
	v_pk_add_f32 v[108:109], v[142:143], v[108:109]
	v_pk_fma_f32 v[142:143], v[112:113], s[20:21], v[114:115] op_sel:[0,0,1] op_sel_hi:[1,0,0] neg_lo:[0,0,1] neg_hi:[0,0,1]
	v_pk_fma_f32 v[112:113], v[112:113], s[20:21], v[114:115] op_sel:[0,0,1] op_sel_hi:[1,0,0]
	v_mov_b32_e32 v114, v142
	v_mov_b32_e32 v115, v113
	v_pk_add_f32 v[108:109], v[114:115], v[108:109]
	v_pk_mul_f32 v[114:115], v[118:119], s[48:49] op_sel_hi:[1,0]
	v_mov_b32_e32 v1, v103
	v_pk_fma_f32 v[118:119], v[116:117], s[0:1], v[114:115] op_sel:[0,0,1] op_sel_hi:[1,0,0] neg_lo:[0,0,1] neg_hi:[0,0,1]
	v_pk_fma_f32 v[114:115], v[116:117], s[0:1], v[114:115] op_sel:[0,0,1] op_sel_hi:[1,0,0]
	v_mov_b32_e32 v116, v118
	v_mov_b32_e32 v117, v115
	v_pk_add_f32 v[108:109], v[116:117], v[108:109]
	v_pk_mul_f32 v[116:117], v[122:123], s[28:29] op_sel_hi:[1,0]
	v_mov_b32_e32 v97, v111
	v_pk_fma_f32 v[122:123], v[120:121], s[18:19], v[116:117] op_sel:[0,0,1] op_sel_hi:[1,0,0] neg_lo:[0,0,1] neg_hi:[0,0,1]
	v_pk_fma_f32 v[116:117], v[120:121], s[18:19], v[116:117] op_sel:[0,0,1] op_sel_hi:[1,0,0]
	v_mov_b32_e32 v120, v122
	v_mov_b32_e32 v121, v117
	v_pk_add_f32 v[108:109], v[120:121], v[108:109]
	v_pk_mul_f32 v[120:121], v[126:127], s[38:39] op_sel_hi:[1,0]
	v_pk_add_f32 v[0:1], v[2:3], v[0:1]
	v_pk_fma_f32 v[126:127], v[124:125], s[8:9], v[120:121] op_sel:[0,0,1] op_sel_hi:[1,0,0] neg_lo:[0,0,1] neg_hi:[0,0,1]
	v_pk_fma_f32 v[120:121], v[124:125], s[8:9], v[120:121] op_sel:[0,0,1] op_sel_hi:[1,0,0]
	v_mov_b32_e32 v124, v126
	v_mov_b32_e32 v125, v121
	v_pk_add_f32 v[108:109], v[124:125], v[108:109]
	v_pk_mul_f32 v[124:125], v[130:131], s[22:23] op_sel_hi:[1,0]
	v_pk_add_f32 v[0:1], v[96:97], v[0:1]
	v_mov_b32_e32 v113, v143
	v_pk_fma_f32 v[130:131], v[128:129], s[16:17], v[124:125] op_sel:[0,0,1] op_sel_hi:[1,0,0] neg_lo:[0,0,1] neg_hi:[0,0,1]
	v_pk_fma_f32 v[124:125], v[128:129], s[16:17], v[124:125] op_sel:[0,0,1] op_sel_hi:[1,0,0]
	v_pk_add_f32 v[0:1], v[112:113], v[0:1]
	v_mov_b32_e32 v115, v119
	v_mov_b32_e32 v128, v130
	;; [unrolled: 1-line block ×3, first 2 shown]
	v_pk_add_f32 v[0:1], v[114:115], v[0:1]
	v_mov_b32_e32 v117, v123
	v_pk_add_f32 v[108:109], v[128:129], v[108:109]
	v_pk_mul_f32 v[128:129], v[134:135], s[54:55] op_sel_hi:[1,0]
	v_pk_add_f32 v[0:1], v[116:117], v[0:1]
	v_mov_b32_e32 v121, v127
	v_pk_fma_f32 v[134:135], v[132:133], s[14:15], v[128:129] op_sel:[0,0,1] op_sel_hi:[1,0,0] neg_lo:[0,0,1] neg_hi:[0,0,1]
	v_pk_fma_f32 v[128:129], v[132:133], s[14:15], v[128:129] op_sel:[0,0,1] op_sel_hi:[1,0,0]
	v_pk_add_f32 v[0:1], v[120:121], v[0:1]
	v_mov_b32_e32 v125, v131
	v_mov_b32_e32 v132, v134
	;; [unrolled: 1-line block ×3, first 2 shown]
	v_pk_add_f32 v[0:1], v[124:125], v[0:1]
	v_mov_b32_e32 v129, v135
	v_pk_add_f32 v[108:109], v[132:133], v[108:109]
	v_pk_add_f32 v[0:1], v[128:129], v[0:1]
	ds_write2_b64 v8, v[108:109], v[0:1] offset0:56 offset1:63
	v_pk_add_f32 v[0:1], v[2:3], v[234:235]
	v_pk_add_f32 v[4:5], v[210:211], v[4:5]
	;; [unrolled: 1-line block ×9, first 2 shown]
	v_mov_b32_e32 v41, v47
	v_pk_add_f32 v[0:1], v[254:255], v[0:1]
	v_pk_add_f32 v[4:5], v[226:227], v[4:5]
	;; [unrolled: 1-line block ×5, first 2 shown]
	ds_write2_b64 v8, v[0:1], v[4:5] offset0:70 offset1:77
	v_pk_add_f32 v[0:1], v[2:3], v[168:169]
	v_pk_add_f32 v[4:5], v[2:3], v[136:137]
	;; [unrolled: 1-line block ×11, first 2 shown]
	v_mov_b32_e32 v195, v193
	v_pk_add_f32 v[4:5], v[158:159], v[4:5]
	v_mov_b32_e32 v163, v161
	v_pk_add_f32 v[0:1], v[194:195], v[0:1]
	;; [unrolled: 2-line block ×4, first 2 shown]
	v_pk_add_f32 v[4:5], v[166:167], v[4:5]
	v_mov_b32_e32 v73, v75
	v_mov_b32_e32 v37, v43
	ds_write2_b64 v8, v[0:1], v[4:5] offset0:84 offset1:91
	v_mov_b32_e32 v77, v21
	v_pk_add_f32 v[0:1], v[2:3], v[72:73]
	v_mov_b32_e32 v45, v25
	v_pk_add_f32 v[4:5], v[2:3], v[36:37]
	v_pk_add_f32 v[0:1], v[76:77], v[0:1]
	v_mov_b32_e32 v83, v81
	v_pk_add_f32 v[4:5], v[44:45], v[4:5]
	v_mov_b32_e32 v51, v49
	;; [unrolled: 2-line block ×12, first 2 shown]
	v_pk_add_f32 v[0:1], v[106:107], v[0:1]
	v_pk_add_f32 v[4:5], v[70:71], v[4:5]
	v_mov_b32_e32 v7, v175
	ds_write2_b64 v8, v[0:1], v[4:5] offset0:98 offset1:105
	v_pk_add_f32 v[0:1], v[2:3], v[6:7]
	v_mov_b32_e32 v11, v9
	v_pk_add_f32 v[0:1], v[10:11], v[0:1]
	v_accvgpr_read_b32 v15, a1
	v_pk_add_f32 v[0:1], v[14:15], v[0:1]
	v_accvgpr_read_b32 v19, a3
	s_load_dwordx2 s[64:65], s[64:65], 0x0
	v_pk_add_f32 v[0:1], v[18:19], v[0:1]
	v_accvgpr_read_b32 v23, a5
	v_pk_add_f32 v[0:1], v[22:23], v[0:1]
	v_accvgpr_read_b32 v27, a7
	v_pk_add_f32 v[0:1], v[26:27], v[0:1]
	v_mov_b32_e32 v31, v29
	v_pk_add_f32 v[0:1], v[30:31], v[0:1]
	v_mov_b32_e32 v35, v33
	v_pk_add_f32 v[0:1], v[34:35], v[0:1]
	ds_write_b64 v8, v[0:1] offset:896
	s_waitcnt lgkmcnt(0)
	s_barrier
	s_and_saveexec_b64 s[68:69], s[66:67]
	s_cbranch_execz .LBB0_48
; %bb.47:
	v_mul_lo_u16_e32 v0, 31, v16
	v_lshrrev_b16_e32 v0, 9, v0
	v_mul_lo_u16_e32 v0, 17, v0
	v_sub_u16_e32 v0, v16, v0
	v_and_b32_e32 v39, 0xff, v0
	v_add_u32_e32 v0, 0x110, v39
	v_mov_b32_e32 v41, 3
	v_add_u32_e32 v1, 0xff, v39
	v_mul_lo_u32 v0, v174, v0
	v_lshlrev_b32_e32 v50, 7, v39
	v_mul_lo_u32 v1, v174, v1
	v_lshlrev_b32_sdwa v3, v41, v0 dst_sel:DWORD dst_unused:UNUSED_PAD src0_sel:DWORD src1_sel:BYTE_0
	global_load_dwordx4 v[6:9], v50, s[52:53] offset:16
	global_load_dwordx4 v[10:13], v50, s[52:53]
	v_lshlrev_b32_sdwa v4, v41, v0 dst_sel:DWORD dst_unused:UNUSED_PAD src0_sel:DWORD src1_sel:BYTE_1
	v_lshlrev_b32_sdwa v5, v41, v1 dst_sel:DWORD dst_unused:UNUSED_PAD src0_sel:DWORD src1_sel:BYTE_0
	v_lshlrev_b32_sdwa v14, v41, v1 dst_sel:DWORD dst_unused:UNUSED_PAD src0_sel:DWORD src1_sel:BYTE_1
	global_load_dwordx2 v[42:43], v3, s[12:13]
	global_load_dwordx2 v[0:1], v4, s[12:13] offset:2048
	global_load_dwordx2 v[44:45], v5, s[12:13]
	global_load_dwordx2 v[48:49], v14, s[12:13] offset:2048
	v_add_u32_e32 v3, 0xdd, v39
	v_add_u32_e32 v2, 0xee, v39
	v_mul_lo_u32 v3, v174, v3
	v_mul_lo_u32 v2, v174, v2
	v_lshlrev_b32_sdwa v4, v41, v3 dst_sel:DWORD dst_unused:UNUSED_PAD src0_sel:DWORD src1_sel:BYTE_0
	v_lshlrev_b32_sdwa v15, v41, v2 dst_sel:DWORD dst_unused:UNUSED_PAD src0_sel:DWORD src1_sel:BYTE_0
	v_lshlrev_b32_sdwa v2, v41, v2 dst_sel:DWORD dst_unused:UNUSED_PAD src0_sel:DWORD src1_sel:BYTE_1
	v_lshlrev_b32_sdwa v3, v41, v3 dst_sel:DWORD dst_unused:UNUSED_PAD src0_sel:DWORD src1_sel:BYTE_1
	global_load_dwordx2 v[46:47], v4, s[12:13]
	global_load_dwordx2 v[52:53], v3, s[12:13] offset:2048
	global_load_dwordx2 v[54:55], v2, s[12:13] offset:2048
	global_load_dwordx2 v[56:57], v15, s[12:13]
	v_mul_i32_i24_e32 v2, 0xfffffc80, v16
	v_lshlrev_b32_e32 v3, 3, v184
	v_add3_u32 v138, v28, v2, v3
	v_add_u32_e32 v14, 0xc00, v138
	v_add_u32_e32 v15, 0x2c00, v138
	v_add_u32_e32 v16, 0x800, v138
	ds_read2_b64 v[2:5], v138 offset1:119
	ds_read_b64 v[58:59], v138 offset:1904
	ds_read_b64 v[60:61], v138 offset:15232
	ds_read2_b64 v[26:29], v14 offset0:92 offset1:211
	ds_read2_b64 v[18:21], v15 offset0:20 offset1:139
	ds_read2_b32 v[66:67], v16 offset0:202 offset1:203
	v_add_u32_e32 v38, 0xcc, v39
	v_mul_lo_u32 v38, v174, v38
	global_load_dwordx4 v[34:37], v50, s[52:53] offset:32
	global_load_dwordx4 v[62:65], v50, s[52:53] offset:48
	;; [unrolled: 1-line block ×6, first 2 shown]
	v_lshlrev_b32_sdwa v68, v41, v38 dst_sel:DWORD dst_unused:UNUSED_PAD src0_sel:DWORD src1_sel:BYTE_0
	v_lshlrev_b32_sdwa v69, v41, v38 dst_sel:DWORD dst_unused:UNUSED_PAD src0_sel:DWORD src1_sel:BYTE_1
	s_mul_hi_u32 s3, s64, s26
	s_waitcnt vmcnt(15) lgkmcnt(0)
	v_mul_f32_e32 v81, v7, v66
	v_mul_f32_e32 v7, v67, v7
	s_waitcnt vmcnt(14)
	v_mul_f32_e32 v176, v11, v4
	v_mul_f32_e32 v11, v11, v5
	v_fmac_f32_e32 v81, v67, v6
	v_fma_f32 v80, v6, v66, -v7
	v_fmac_f32_e32 v176, v10, v5
	v_fma_f32 v177, v10, v4, -v11
	s_waitcnt vmcnt(12)
	v_mov_b32_e32 v4, v1
	v_pk_mul_f32 v[6:7], v[42:43], v[0:1] op_sel:[1,0] op_sel_hi:[0,1]
	v_pk_mul_f32 v[50:51], v[26:27], v[8:9] op_sel:[1,0] op_sel_hi:[0,1]
	v_mov_b32_e32 v38, v9
	s_waitcnt vmcnt(10)
	v_mov_b32_e32 v6, v49
	v_pk_mul_f32 v[4:5], v[42:43], v[4:5] op_sel:[1,0] op_sel_hi:[0,1]
	s_waitcnt vmcnt(6)
	v_pk_mul_f32 v[10:11], v[56:57], v[54:55] op_sel:[1,0] op_sel_hi:[0,1]
	v_mov_b32_e32 v10, v7
	v_mov_b32_e32 v40, v51
	v_pk_mul_f32 v[50:51], v[26:27], v[38:39] op_sel:[1,0] op_sel_hi:[0,1]
	v_pk_mul_f32 v[6:7], v[44:45], v[6:7] op_sel:[1,0] op_sel_hi:[0,1]
	v_pk_fma_f32 v[86:87], v[42:43], v[0:1], v[4:5] neg_lo:[0,0,1] neg_hi:[0,0,1]
	v_pk_fma_f32 v[88:89], v[42:43], v[0:1], v[10:11] op_sel:[1,0,0] op_sel_hi:[0,1,1]
	global_load_dwordx2 v[0:1], v68, s[12:13]
	global_load_dwordx2 v[4:5], v69, s[12:13] offset:2048
	v_pk_fma_f32 v[84:85], v[26:27], v[8:9], v[40:41] op_sel:[1,0,0] op_sel_hi:[0,1,1]
	v_pk_fma_f32 v[82:83], v[26:27], v[8:9], v[50:51] neg_lo:[0,0,1] neg_hi:[0,0,1]
	v_pk_mul_f32 v[8:9], v[44:45], v[48:49] op_sel:[1,0] op_sel_hi:[0,1]
	v_pk_fma_f32 v[94:95], v[44:45], v[48:49], v[6:7] neg_lo:[0,0,1] neg_hi:[0,0,1]
	v_add_u32_e32 v6, 0xbb, v39
	v_mul_f32_e32 v175, v13, v58
	v_mul_f32_e32 v13, v13, v59
	v_mov_b32_e32 v8, v55
	v_mul_lo_u32 v6, v174, v6
	v_fmac_f32_e32 v175, v12, v59
	v_fma_f32 v38, v12, v58, -v13
	v_mov_b32_e32 v12, v9
	v_pk_mul_f32 v[8:9], v[56:57], v[8:9] op_sel:[1,0] op_sel_hi:[0,1]
	v_lshlrev_b32_sdwa v10, v41, v6 dst_sel:DWORD dst_unused:UNUSED_PAD src0_sel:DWORD src1_sel:BYTE_0
	v_pk_fma_f32 v[98:99], v[44:45], v[48:49], v[12:13] op_sel:[1,0,0] op_sel_hi:[0,1,1]
	v_pk_fma_f32 v[74:75], v[56:57], v[54:55], v[8:9] neg_lo:[0,0,1] neg_hi:[0,0,1]
	v_lshlrev_b32_sdwa v12, v41, v6 dst_sel:DWORD dst_unused:UNUSED_PAD src0_sel:DWORD src1_sel:BYTE_1
	global_load_dwordx2 v[6:7], v10, s[12:13]
	global_load_dwordx2 v[8:9], v12, s[12:13] offset:2048
	v_add_u32_e32 v10, 0xaa, v39
	v_mul_lo_u32 v10, v174, v10
	v_lshlrev_b32_sdwa v40, v41, v10 dst_sel:DWORD dst_unused:UNUSED_PAD src0_sel:DWORD src1_sel:BYTE_0
	v_lshlrev_b32_sdwa v10, v41, v10 dst_sel:DWORD dst_unused:UNUSED_PAD src0_sel:DWORD src1_sel:BYTE_1
	global_load_dwordx2 v[12:13], v40, s[12:13]
	global_load_dwordx2 v[26:27], v10, s[12:13] offset:2048
	v_add_u32_e32 v10, 0x99, v39
	v_mul_lo_u32 v10, v174, v10
	v_lshlrev_b32_sdwa v40, v41, v10 dst_sel:DWORD dst_unused:UNUSED_PAD src0_sel:DWORD src1_sel:BYTE_0
	;; [unrolled: 6-line block ×10, first 2 shown]
	v_lshlrev_b32_sdwa v10, v41, v10 dst_sel:DWORD dst_unused:UNUSED_PAD src0_sel:DWORD src1_sel:BYTE_1
	global_load_dwordx2 v[116:117], v40, s[12:13]
	global_load_dwordx2 v[122:123], v10, s[12:13] offset:2048
	v_mov_b32_e32 v10, v11
	v_mul_lo_u32 v11, v174, v39
	v_lshlrev_b32_sdwa v40, v41, v11 dst_sel:DWORD dst_unused:UNUSED_PAD src0_sel:DWORD src1_sel:BYTE_0
	v_lshlrev_b32_sdwa v11, v41, v11 dst_sel:DWORD dst_unused:UNUSED_PAD src0_sel:DWORD src1_sel:BYTE_1
	global_load_dwordx2 v[126:127], v40, s[12:13]
	global_load_dwordx2 v[128:129], v11, s[12:13] offset:2048
	v_pk_fma_f32 v[96:97], v[56:57], v[54:55], v[10:11] op_sel:[1,0,0] op_sel_hi:[0,1,1]
	v_mov_b32_e32 v10, v53
	v_pk_mul_f32 v[10:11], v[46:47], v[10:11] op_sel:[1,0] op_sel_hi:[0,1]
	v_pk_fma_f32 v[66:67], v[46:47], v[52:53], v[10:11] neg_lo:[0,0,1] neg_hi:[0,0,1]
	v_pk_mul_f32 v[10:11], v[46:47], v[52:53] op_sel:[1,0] op_sel_hi:[0,1]
	v_mov_b32_e32 v10, v11
	v_pk_fma_f32 v[70:71], v[46:47], v[52:53], v[10:11] op_sel:[1,0,0] op_sel_hi:[0,1,1]
	s_waitcnt vmcnt(24)
	v_mov_b32_e32 v10, v5
	v_pk_mul_f32 v[10:11], v[0:1], v[10:11] op_sel:[1,0] op_sel_hi:[0,1]
	v_pk_fma_f32 v[52:53], v[0:1], v[4:5], v[10:11] neg_lo:[0,0,1] neg_hi:[0,0,1]
	v_pk_mul_f32 v[10:11], v[0:1], v[4:5] op_sel:[1,0] op_sel_hi:[0,1]
	v_mov_b32_e32 v10, v11
	v_pk_fma_f32 v[54:55], v[0:1], v[4:5], v[10:11] op_sel:[1,0,0] op_sel_hi:[0,1,1]
	v_mov_b32_e32 v83, v84
	s_waitcnt vmcnt(22)
	v_mov_b32_e32 v0, v9
	v_pk_mul_f32 v[0:1], v[6:7], v[0:1] op_sel:[1,0] op_sel_hi:[0,1]
	v_pk_fma_f32 v[44:45], v[6:7], v[8:9], v[0:1] neg_lo:[0,0,1] neg_hi:[0,0,1]
	v_pk_mul_f32 v[0:1], v[6:7], v[8:9] op_sel:[1,0] op_sel_hi:[0,1]
	v_mov_b32_e32 v0, v1
	v_pk_fma_f32 v[48:49], v[6:7], v[8:9], v[0:1] op_sel:[1,0,0] op_sel_hi:[0,1,1]
	s_waitcnt vmcnt(20)
	v_mov_b32_e32 v0, v27
	v_pk_mul_f32 v[0:1], v[12:13], v[0:1] op_sel:[1,0] op_sel_hi:[0,1]
	v_pk_fma_f32 v[40:41], v[12:13], v[26:27], v[0:1] neg_lo:[0,0,1] neg_hi:[0,0,1]
	v_pk_mul_f32 v[0:1], v[12:13], v[26:27] op_sel:[1,0] op_sel_hi:[0,1]
	v_mov_b32_e32 v0, v1
	v_pk_fma_f32 v[42:43], v[12:13], v[26:27], v[0:1] op_sel:[1,0,0] op_sel_hi:[0,1,1]
	s_waitcnt vmcnt(18)
	v_mov_b32_e32 v0, v59
	v_pk_mul_f32 v[0:1], v[50:51], v[0:1] op_sel:[1,0] op_sel_hi:[0,1]
	v_pk_fma_f32 v[8:9], v[50:51], v[58:59], v[0:1] neg_lo:[0,0,1] neg_hi:[0,0,1]
	v_pk_mul_f32 v[0:1], v[50:51], v[58:59] op_sel:[1,0] op_sel_hi:[0,1]
	v_mov_b32_e32 v0, v1
	v_pk_fma_f32 v[10:11], v[50:51], v[58:59], v[0:1] op_sel:[1,0,0] op_sel_hi:[0,1,1]
	s_waitcnt vmcnt(16)
	v_mov_b32_e32 v0, v73
	v_pk_mul_f32 v[0:1], v[68:69], v[0:1] op_sel:[1,0] op_sel_hi:[0,1]
	v_pk_fma_f32 v[4:5], v[68:69], v[72:73], v[0:1] neg_lo:[0,0,1] neg_hi:[0,0,1]
	v_pk_mul_f32 v[0:1], v[68:69], v[72:73] op_sel:[1,0] op_sel_hi:[0,1]
	v_mov_b32_e32 v0, v1
	v_pk_fma_f32 v[6:7], v[68:69], v[72:73], v[0:1] op_sel:[1,0,0] op_sel_hi:[0,1,1]
	s_waitcnt vmcnt(14)
	v_mov_b32_e32 v0, v79
	v_pk_mul_f32 v[0:1], v[76:77], v[0:1] op_sel:[1,0] op_sel_hi:[0,1]
	v_pk_fma_f32 v[12:13], v[76:77], v[78:79], v[0:1] neg_lo:[0,0,1] neg_hi:[0,0,1]
	v_pk_mul_f32 v[0:1], v[76:77], v[78:79] op_sel:[1,0] op_sel_hi:[0,1]
	v_mov_b32_e32 v0, v1
	v_pk_fma_f32 v[26:27], v[76:77], v[78:79], v[0:1] op_sel:[1,0,0] op_sel_hi:[0,1,1]
	s_waitcnt vmcnt(12)
	v_mov_b32_e32 v0, v93
	v_pk_mul_f32 v[0:1], v[90:91], v[0:1] op_sel:[1,0] op_sel_hi:[0,1]
	v_pk_fma_f32 v[46:47], v[90:91], v[92:93], v[0:1] neg_lo:[0,0,1] neg_hi:[0,0,1]
	v_pk_mul_f32 v[0:1], v[90:91], v[92:93] op_sel:[1,0] op_sel_hi:[0,1]
	v_mov_b32_e32 v0, v1
	v_pk_fma_f32 v[50:51], v[90:91], v[92:93], v[0:1] op_sel:[1,0,0] op_sel_hi:[0,1,1]
	s_waitcnt vmcnt(10)
	v_mov_b32_e32 v0, v103
	v_pk_mul_f32 v[0:1], v[100:101], v[0:1] op_sel:[1,0] op_sel_hi:[0,1]
	v_pk_fma_f32 v[56:57], v[100:101], v[102:103], v[0:1] neg_lo:[0,0,1] neg_hi:[0,0,1]
	v_pk_mul_f32 v[0:1], v[100:101], v[102:103] op_sel:[1,0] op_sel_hi:[0,1]
	v_mov_b32_e32 v0, v1
	v_pk_fma_f32 v[58:59], v[100:101], v[102:103], v[0:1] op_sel:[1,0,0] op_sel_hi:[0,1,1]
	s_waitcnt vmcnt(8)
	v_mov_b32_e32 v0, v107
	v_pk_mul_f32 v[0:1], v[104:105], v[0:1] op_sel:[1,0] op_sel_hi:[0,1]
	v_pk_fma_f32 v[76:77], v[104:105], v[106:107], v[0:1] neg_lo:[0,0,1] neg_hi:[0,0,1]
	v_pk_mul_f32 v[0:1], v[104:105], v[106:107] op_sel:[1,0] op_sel_hi:[0,1]
	v_mov_b32_e32 v0, v1
	v_pk_fma_f32 v[78:79], v[104:105], v[106:107], v[0:1] op_sel:[1,0,0] op_sel_hi:[0,1,1]
	s_waitcnt vmcnt(6)
	v_mov_b32_e32 v0, v111
	v_pk_mul_f32 v[0:1], v[108:109], v[0:1] op_sel:[1,0] op_sel_hi:[0,1]
	v_pk_fma_f32 v[100:101], v[108:109], v[110:111], v[0:1] neg_lo:[0,0,1] neg_hi:[0,0,1]
	v_pk_mul_f32 v[0:1], v[108:109], v[110:111] op_sel:[1,0] op_sel_hi:[0,1]
	v_mov_b32_e32 v0, v1
	v_pk_fma_f32 v[102:103], v[108:109], v[110:111], v[0:1] op_sel:[1,0,0] op_sel_hi:[0,1,1]
	s_waitcnt vmcnt(4)
	v_mov_b32_e32 v0, v115
	v_pk_mul_f32 v[0:1], v[112:113], v[0:1] op_sel:[1,0] op_sel_hi:[0,1]
	v_pk_fma_f32 v[108:109], v[112:113], v[114:115], v[0:1] neg_lo:[0,0,1] neg_hi:[0,0,1]
	v_pk_mul_f32 v[0:1], v[112:113], v[114:115] op_sel:[1,0] op_sel_hi:[0,1]
	v_mov_b32_e32 v0, v1
	v_pk_fma_f32 v[110:111], v[112:113], v[114:115], v[0:1] op_sel:[1,0,0] op_sel_hi:[0,1,1]
	s_waitcnt vmcnt(2)
	v_mov_b32_e32 v0, v123
	v_pk_mul_f32 v[0:1], v[116:117], v[0:1] op_sel:[1,0] op_sel_hi:[0,1]
	v_pk_fma_f32 v[114:115], v[116:117], v[122:123], v[0:1] neg_lo:[0,0,1] neg_hi:[0,0,1]
	v_pk_mul_f32 v[0:1], v[116:117], v[122:123] op_sel:[1,0] op_sel_hi:[0,1]
	v_mov_b32_e32 v0, v1
	v_pk_fma_f32 v[116:117], v[116:117], v[122:123], v[0:1] op_sel:[1,0,0] op_sel_hi:[0,1,1]
	s_waitcnt vmcnt(0)
	v_mov_b32_e32 v0, v129
	v_pk_mul_f32 v[0:1], v[126:127], v[0:1] op_sel:[1,0] op_sel_hi:[0,1]
	v_pk_fma_f32 v[90:91], v[126:127], v[128:129], v[0:1] neg_lo:[0,0,1] neg_hi:[0,0,1]
	v_add_u32_e32 v0, 0x1c00, v138
	ds_read2_b64 v[122:125], v0 offset0:56 offset1:175
	v_pk_mul_f32 v[0:1], v[126:127], v[128:129] op_sel:[1,0] op_sel_hi:[0,1]
	v_mov_b32_e32 v0, v1
	v_pk_fma_f32 v[92:93], v[126:127], v[128:129], v[0:1] op_sel:[1,0,0] op_sel_hi:[0,1,1]
	v_mov_b32_e32 v0, v65
	s_waitcnt lgkmcnt(0)
	v_pk_mul_f32 v[0:1], v[122:123], v[0:1] op_sel_hi:[1,0]
	s_nop 0
	v_pk_fma_f32 v[104:105], v[122:123], v[64:65], v[0:1] op_sel:[0,0,1] op_sel_hi:[1,1,0] neg_lo:[0,0,1] neg_hi:[0,0,1]
	v_pk_fma_f32 v[0:1], v[122:123], v[64:65], v[0:1] op_sel:[0,0,1] op_sel_hi:[1,0,0]
	v_add_u32_e32 v64, 0x1400, v138
	v_mov_b32_e32 v105, v1
	v_pk_mul_f32 v[0:1], v[124:125], v[118:119] op_sel:[0,1]
	ds_read2_b64 v[126:129], v64 offset0:74 offset1:193
	v_pk_fma_f32 v[106:107], v[124:125], v[118:119], v[0:1] op_sel:[0,0,1] op_sel_hi:[1,1,0] neg_lo:[0,0,1] neg_hi:[0,0,1]
	v_pk_fma_f32 v[0:1], v[124:125], v[118:119], v[0:1] op_sel:[0,0,1] op_sel_hi:[1,0,0]
	s_nop 0
	v_add_u32_e32 v0, 0x2400, v138
	ds_read2_b64 v[122:125], v0 offset0:38 offset1:157
	v_mov_b32_e32 v107, v1
	s_waitcnt lgkmcnt(1)
	v_pk_mul_f32 v[0:1], v[128:129], v[62:63] op_sel:[0,1]
	v_pk_add_f32 v[72:73], v[104:105], v[106:107] neg_lo:[0,1] neg_hi:[0,1]
	v_pk_fma_f32 v[130:131], v[128:129], v[62:63], v[0:1] op_sel:[0,0,1] op_sel_hi:[1,0,0] neg_lo:[0,0,1] neg_hi:[0,0,1]
	v_pk_fma_f32 v[0:1], v[128:129], v[62:63], v[0:1] op_sel:[0,0,1] op_sel_hi:[1,0,0]
	v_pk_add_f32 v[68:69], v[104:105], v[106:107]
	v_mov_b32_e32 v0, v121
	s_waitcnt lgkmcnt(0)
	v_pk_mul_f32 v[62:63], v[122:123], v[0:1] op_sel_hi:[1,0]
	v_mov_b32_e32 v0, v37
	v_pk_fma_f32 v[112:113], v[122:123], v[120:121], v[62:63] op_sel:[0,0,1] op_sel_hi:[1,1,0] neg_lo:[0,0,1] neg_hi:[0,0,1]
	v_pk_fma_f32 v[62:63], v[122:123], v[120:121], v[62:63] op_sel:[0,0,1] op_sel_hi:[1,0,0]
	v_mov_b32_e32 v131, v1
	v_mov_b32_e32 v113, v63
	v_pk_mul_f32 v[62:63], v[126:127], v[0:1] op_sel_hi:[1,0]
	v_mov_b32_e32 v0, v33
	v_pk_fma_f32 v[132:133], v[126:127], v[36:37], v[62:63] op_sel:[0,0,1] op_sel_hi:[1,0,0] neg_lo:[0,0,1] neg_hi:[0,0,1]
	v_pk_fma_f32 v[126:127], v[126:127], v[36:37], v[62:63] op_sel:[0,0,1] op_sel_hi:[1,0,0]
	v_pk_mul_f32 v[36:37], v[124:125], v[30:31] op_sel:[0,1]
	v_mov_b32_e32 v133, v127
	v_pk_fma_f32 v[118:119], v[124:125], v[30:31], v[36:37] op_sel:[0,0,1] op_sel_hi:[1,1,0] neg_lo:[0,0,1] neg_hi:[0,0,1]
	v_pk_fma_f32 v[30:31], v[124:125], v[30:31], v[36:37] op_sel:[0,0,1] op_sel_hi:[1,0,0]
	v_pk_add_f32 v[64:65], v[130:131], v[112:113] neg_lo:[0,1] neg_hi:[0,1]
	v_mov_b32_e32 v119, v31
	v_pk_mul_f32 v[30:31], v[28:29], v[34:35] op_sel:[0,1]
	v_pk_add_f32 v[36:37], v[132:133], v[118:119]
	v_pk_fma_f32 v[124:125], v[28:29], v[34:35], v[30:31] op_sel:[0,0,1] op_sel_hi:[1,0,0] neg_lo:[0,0,1] neg_hi:[0,0,1]
	v_pk_fma_f32 v[134:135], v[28:29], v[34:35], v[30:31] op_sel:[0,0,1] op_sel_hi:[1,0,0]
	v_pk_mul_f32 v[28:29], v[18:19], v[0:1] op_sel_hi:[1,0]
	v_mov_b32_e32 v125, v135
	v_pk_fma_f32 v[136:137], v[18:19], v[32:33], v[28:29] op_sel:[0,0,1] op_sel_hi:[1,1,0] neg_lo:[0,0,1] neg_hi:[0,0,1]
	v_pk_fma_f32 v[18:19], v[18:19], v[32:33], v[28:29] op_sel:[0,0,1] op_sel_hi:[1,0,0]
	v_add_u32_e32 v0, 0x3000, v138
	v_mov_b32_e32 v137, v19
	v_pk_add_f32 v[28:29], v[124:125], v[136:137] neg_lo:[0,1] neg_hi:[0,1]
	v_pk_add_f32 v[18:19], v[124:125], v[136:137]
	v_pk_mul_f32 v[30:31], v[28:29], s[22:23] op_sel:[1,0] op_sel_hi:[0,0]
	v_pk_fma_f32 v[122:123], v[18:19], s[16:17], v[30:31] op_sel_hi:[1,0,1]
	v_pk_fma_f32 v[120:121], v[18:19], s[16:17], v[30:31] op_sel_hi:[1,0,1] neg_lo:[0,0,1] neg_hi:[0,0,1]
	ds_read2_b64 v[30:33], v0 offset0:130 offset1:249
	v_pk_mul_f32 v[34:35], v[20:21], v[22:23] op_sel:[0,1]
	v_mov_b32_e32 v0, v25
	v_pk_fma_f32 v[138:139], v[20:21], v[22:23], v[34:35] op_sel:[0,0,1] op_sel_hi:[1,1,0] neg_lo:[0,0,1] neg_hi:[0,0,1]
	v_pk_fma_f32 v[20:21], v[20:21], v[22:23], v[34:35] op_sel:[0,0,1] op_sel_hi:[1,0,0]
	v_pk_add_f32 v[62:63], v[130:131], v[112:113]
	v_mov_b32_e32 v139, v21
	s_waitcnt lgkmcnt(0)
	v_pk_mul_f32 v[20:21], v[30:31], v[0:1] op_sel_hi:[1,0]
	v_mov_b32_e32 v0, v17
	v_pk_fma_f32 v[140:141], v[30:31], v[24:25], v[20:21] op_sel:[0,0,1] op_sel_hi:[1,1,0] neg_lo:[0,0,1] neg_hi:[0,0,1]
	v_pk_fma_f32 v[20:21], v[30:31], v[24:25], v[20:21] op_sel:[0,0,1] op_sel_hi:[1,0,0]
	v_pk_mul_f32 v[22:23], v[60:61], v[0:1] op_sel_hi:[1,0]
	v_mov_b32_e32 v141, v21
	v_pk_mul_f32 v[20:21], v[32:33], v[14:15] op_sel:[0,1]
	v_pk_add_f32 v[30:31], v[82:83], v[138:139] neg_lo:[0,1] neg_hi:[0,1]
	v_pk_fma_f32 v[142:143], v[32:33], v[14:15], v[20:21] op_sel:[0,0,1] op_sel_hi:[1,0,0] neg_lo:[0,0,1] neg_hi:[0,0,1]
	v_pk_fma_f32 v[144:145], v[32:33], v[14:15], v[20:21] op_sel:[0,0,1] op_sel_hi:[1,0,0]
	v_pk_fma_f32 v[146:147], v[60:61], v[16:17], v[22:23] op_sel:[0,0,1] op_sel_hi:[1,0,0] neg_lo:[0,0,1] neg_hi:[0,0,1]
	v_pk_fma_f32 v[148:149], v[60:61], v[16:17], v[22:23] op_sel:[0,0,1] op_sel_hi:[1,0,0]
	v_pk_add_f32 v[24:25], v[82:83], v[138:139]
	v_pk_mul_f32 v[22:23], v[30:31], s[36:37] op_sel:[1,0] op_sel_hi:[0,0]
	v_pk_add_f32 v[34:35], v[80:81], v[140:141] neg_lo:[0,1] neg_hi:[0,1]
	v_sub_f32_e32 v21, v38, v142
	v_add_f32_e32 v129, v176, v149
	v_sub_f32_e32 v20, v175, v145
	v_sub_f32_e32 v181, v176, v149
	v_pk_fma_f32 v[150:151], v[24:25], s[14:15], v[22:23] op_sel_hi:[1,0,1]
	v_pk_fma_f32 v[152:153], v[24:25], s[14:15], v[22:23] op_sel_hi:[1,0,1] neg_lo:[0,0,1] neg_hi:[0,0,1]
	v_pk_add_f32 v[32:33], v[80:81], v[140:141]
	v_pk_mul_f32 v[22:23], v[34:35], s[50:51] op_sel:[1,0] op_sel_hi:[0,0]
	v_add_f32_e32 v15, v175, v145
	v_mul_f32_e32 v125, 0x3f6eb680, v129
	v_sub_f32_e32 v128, v177, v146
	v_add_f32_e32 v14, v38, v142
	v_add_f32_e32 v180, v177, v146
	v_mul_f32_e32 v182, 0xbeb8f4ab, v181
	v_pk_fma_f32 v[154:155], v[32:33], s[8:9], v[22:23] op_sel_hi:[1,0,1]
	v_pk_fma_f32 v[156:157], v[32:33], s[8:9], v[22:23] op_sel_hi:[1,0,1] neg_lo:[0,0,1] neg_hi:[0,0,1]
	v_pk_mul_f32 v[22:23], v[20:21], s[46:47] op_sel_hi:[1,0]
	v_fmamk_f32 v17, v128, 0x3eb8f4ab, v125
	v_fmamk_f32 v16, v180, 0x3f6eb680, v182
	v_pk_fma_f32 v[158:159], v[14:15], s[0:1], v[22:23] op_sel_hi:[1,0,1]
	v_pk_fma_f32 v[160:161], v[14:15], s[0:1], v[22:23] op_sel_hi:[1,0,1] neg_lo:[0,0,1] neg_hi:[0,0,1]
	v_mov_b32_e32 v22, v158
	v_mov_b32_e32 v23, v161
	v_pk_add_f32 v[16:17], v[16:17], v[2:3]
	v_pk_add_f32 v[60:61], v[132:133], v[118:119] neg_lo:[0,1] neg_hi:[0,1]
	v_pk_add_f32 v[16:17], v[22:23], v[16:17]
	v_mov_b32_e32 v22, v154
	v_mov_b32_e32 v23, v157
	v_pk_add_f32 v[16:17], v[22:23], v[16:17]
	v_mov_b32_e32 v22, v150
	v_mov_b32_e32 v23, v153
	v_pk_add_f32 v[16:17], v[22:23], v[16:17]
	v_mov_b32_e32 v22, v122
	v_mov_b32_e32 v23, v121
	v_pk_add_f32 v[16:17], v[22:23], v[16:17]
	v_pk_mul_f32 v[22:23], v[60:61], s[28:29] op_sel:[1,0] op_sel_hi:[0,0]
	v_pk_fma_f32 v[162:163], v[36:37], s[18:19], v[22:23] op_sel_hi:[1,0,1]
	v_pk_fma_f32 v[164:165], v[36:37], s[18:19], v[22:23] op_sel_hi:[1,0,1] neg_lo:[0,0,1] neg_hi:[0,0,1]
	v_mov_b32_e32 v22, v162
	v_mov_b32_e32 v23, v165
	v_pk_add_f32 v[16:17], v[22:23], v[16:17]
	v_pk_mul_f32 v[22:23], v[64:65], s[30:31] op_sel:[1,0] op_sel_hi:[0,0]
	v_pk_fma_f32 v[166:167], v[62:63], s[20:21], v[22:23] op_sel_hi:[1,0,1]
	v_pk_fma_f32 v[168:169], v[62:63], s[20:21], v[22:23] op_sel_hi:[1,0,1] neg_lo:[0,0,1] neg_hi:[0,0,1]
	v_mov_b32_e32 v22, v166
	v_mov_b32_e32 v23, v169
	;; [unrolled: 6-line block ×3, first 2 shown]
	v_pk_add_f32 v[22:23], v[22:23], v[16:17]
	v_add_f32_e32 v0, v176, v3
	v_pk_mul_f32 v[88:89], v[22:23], v[88:89] op_sel_hi:[1,0]
	v_add_f32_e32 v0, v0, v175
	v_pk_fma_f32 v[16:17], v[22:23], v[86:87], v[88:89] op_sel:[0,0,1] op_sel_hi:[1,1,0] neg_lo:[0,0,1] neg_hi:[0,0,1]
	v_add_f32_e32 v0, v0, v81
	v_add_f32_e32 v17, v177, v2
	v_add_f32_e32 v17, v17, v38
	v_add_f32_e32 v17, v17, v80
	v_add_f32_e32 v0, v0, v84
	v_add_f32_e32 v17, v17, v82
	v_add_f32_e32 v0, v0, v135
	v_add_f32_e32 v17, v17, v124
	v_add_f32_e32 v0, v0, v127
	v_add_f32_e32 v17, v17, v132
	v_add_f32_e32 v1, v0, v1
	v_add_f32_e32 v0, v17, v130
	s_movk_i32 s1, 0x227
	v_accvgpr_read_b32 v17, a0
	v_mul_u32_u24_sdwa v17, v17, s1 dst_sel:DWORD dst_unused:UNUSED_PAD src0_sel:WORD_0 src1_sel:DWORD
	s_movk_i32 s1, 0x121
	v_pk_fma_f32 v[22:23], v[22:23], v[86:87], v[88:89] op_sel:[0,0,1] op_sel_hi:[1,0,0]
	v_mad_u64_u32 v[80:81], s[12:13], s6, v184, 0
	v_mul_lo_u16_sdwa v17, v17, s1 dst_sel:DWORD dst_unused:UNUSED_PAD src0_sel:WORD_1 src1_sel:DWORD
	v_mov_b32_e32 v22, v81
	v_add_u32_e32 v17, v39, v17
	v_mad_u64_u32 v[82:83], s[6:7], s7, v184, v[22:23]
	v_mad_u64_u32 v[38:39], s[6:7], s4, v17, 0
	v_mov_b32_e32 v22, v39
	v_mov_b32_e32 v81, v82
	v_mad_u64_u32 v[82:83], s[6:7], s5, v17, v[22:23]
	v_add_u32_e32 v84, 17, v17
	v_mov_b32_e32 v39, v82
	v_mad_u64_u32 v[82:83], s[6:7], s4, v84, 0
	v_mov_b32_e32 v22, v83
	v_mad_u64_u32 v[84:85], s[6:7], s5, v84, v[22:23]
	v_add_u32_e32 v86, 34, v17
	v_mov_b32_e32 v83, v84
	v_mad_u64_u32 v[84:85], s[6:7], s4, v86, 0
	;; [unrolled: 5-line block ×4, first 2 shown]
	v_mov_b32_e32 v22, v89
	v_mad_u64_u32 v[126:127], s[6:7], s5, v121, v[22:23]
	v_add_u32_e32 v121, 0x55, v17
	v_mad_u64_u32 v[130:131], s[6:7], s4, v121, 0
	v_mov_b32_e32 v22, v131
	v_mov_b32_e32 v89, v126
	v_mad_u64_u32 v[126:127], s[6:7], s5, v121, v[22:23]
	v_add_u32_e32 v121, 0x66, v17
	v_mad_u64_u32 v[132:133], s[6:7], s4, v121, 0
	v_mov_b32_e32 v22, v133
	;; [unrolled: 5-line block ×3, first 2 shown]
	v_mov_b32_e32 v133, v126
	v_mad_u64_u32 v[126:127], s[6:7], s5, v121, v[22:23]
	v_add_u32_e32 v121, 0x88, v17
	v_pk_add_f32 v[0:1], v[0:1], v[104:105]
	v_mad_u64_u32 v[174:175], s[6:7], s4, v121, 0
	v_pk_add_f32 v[0:1], v[0:1], v[106:107]
	v_mov_b32_e32 v22, v175
	v_pk_add_f32 v[0:1], v[0:1], v[112:113]
	v_mov_b32_e32 v135, v126
	v_mad_u64_u32 v[126:127], s[6:7], s5, v121, v[22:23]
	v_add_u32_e32 v121, 0x99, v17
	v_pk_add_f32 v[0:1], v[0:1], v[118:119]
	v_mad_u64_u32 v[176:177], s[6:7], s4, v121, 0
	v_pk_add_f32 v[0:1], v[0:1], v[136:137]
	v_mov_b32_e32 v22, v177
	v_pk_add_f32 v[0:1], v[0:1], v[138:139]
	v_mov_b32_e32 v175, v126
	v_mad_u64_u32 v[126:127], s[6:7], s5, v121, v[22:23]
	v_add_u32_e32 v121, 0xaa, v17
	v_mov_b32_e32 v143, v145
	v_pk_add_f32 v[0:1], v[0:1], v[140:141]
	v_mad_u64_u32 v[178:179], s[6:7], s4, v121, 0
	v_mov_b32_e32 v147, v149
	v_pk_add_f32 v[0:1], v[0:1], v[142:143]
	v_mov_b32_e32 v22, v179
	v_pk_add_f32 v[0:1], v[0:1], v[146:147]
	v_mov_b32_e32 v177, v126
	v_mad_u64_u32 v[126:127], s[6:7], s5, v121, v[22:23]
	v_pk_mul_f32 v[92:93], v[0:1], v[92:93] op_sel_hi:[1,0]
	v_add_u32_e32 v22, 0xbb, v17
	v_pk_fma_f32 v[104:105], v[0:1], v[90:91], v[92:93] op_sel:[0,0,1] op_sel_hi:[1,1,0] neg_lo:[0,0,1] neg_hi:[0,0,1]
	v_pk_fma_f32 v[0:1], v[0:1], v[90:91], v[92:93] op_sel:[0,0,1] op_sel_hi:[1,0,0]
	v_mad_u64_u32 v[136:137], s[6:7], s4, v22, 0
	v_mov_b32_e32 v0, v137
	v_mad_u64_u32 v[90:91], s[6:7], s5, v22, v[0:1]
	v_add_u32_e32 v22, 0xcc, v17
	v_mad_u64_u32 v[138:139], s[6:7], s4, v22, 0
	v_mov_b32_e32 v0, v139
	v_mov_b32_e32 v137, v90
	v_mad_u64_u32 v[90:91], s[6:7], s5, v22, v[0:1]
	v_add_u32_e32 v22, 0xdd, v17
	v_mad_u64_u32 v[140:141], s[6:7], s4, v22, 0
	v_mov_b32_e32 v0, v141
	v_mov_b32_e32 v139, v90
	v_mad_u64_u32 v[90:91], s[6:7], s5, v22, v[0:1]
	s_mul_i32 s1, s65, s26
	s_add_i32 s7, s3, s1
	s_mul_i32 s6, s64, s26
	s_lshl_b64 s[6:7], s[6:7], 3
	s_add_u32 s1, s10, s6
	v_fmac_f32_e32 v125, 0xbeb8f4ab, v128
	v_fma_f32 v124, v180, s2, -v182
	s_addc_u32 s3, s11, s7
	s_lshl_b64 s[6:7], s[24:25], 3
	v_mov_b32_e32 v121, v123
	v_mov_b32_e32 v161, v159
	v_pk_add_f32 v[122:123], v[124:125], v[2:3]
	s_add_u32 s6, s1, s6
	v_mov_b32_e32 v157, v155
	v_pk_add_f32 v[122:123], v[160:161], v[122:123]
	s_addc_u32 s7, s3, s7
	v_mov_b32_e32 v153, v151
	v_pk_add_f32 v[122:123], v[156:157], v[122:123]
	v_mov_b32_e32 v105, v1
	v_lshl_add_u64 v[0:1], v[80:81], 3, s[6:7]
	v_pk_add_f32 v[122:123], v[152:153], v[122:123]
	v_lshl_add_u64 v[38:39], v[38:39], 3, v[0:1]
	v_add_u32_e32 v80, 0xee, v17
	v_mov_b32_e32 v165, v163
	v_pk_add_f32 v[120:121], v[120:121], v[122:123]
	global_store_dwordx2 v[38:39], v[104:105], off
	v_mad_u64_u32 v[38:39], s[6:7], s4, v80, 0
	v_mov_b32_e32 v169, v167
	v_pk_add_f32 v[120:121], v[164:165], v[120:121]
	v_mov_b32_e32 v22, v39
	v_mov_b32_e32 v173, v171
	v_pk_add_f32 v[120:121], v[168:169], v[120:121]
	v_mad_u64_u32 v[80:81], s[6:7], s5, v80, v[22:23]
	v_pk_add_f32 v[120:121], v[172:173], v[120:121]
	v_mov_b32_e32 v39, v80
	v_add_u32_e32 v80, 0xff, v17
	v_pk_mul_f32 v[116:117], v[116:117], v[120:121] op_sel_hi:[0,1]
	v_mad_u64_u32 v[142:143], s[6:7], s4, v80, 0
	v_add_u32_e32 v17, 0x110, v17
	v_pk_fma_f32 v[122:123], v[114:115], v[120:121], v[116:117] op_sel:[0,0,1] op_sel_hi:[1,1,0] neg_lo:[0,0,1] neg_hi:[0,0,1]
	v_pk_fma_f32 v[114:115], v[114:115], v[120:121], v[116:117] op_sel:[0,0,1] op_sel_hi:[0,1,0]
	v_mov_b32_e32 v22, v143
	v_mad_u64_u32 v[144:145], s[6:7], s4, v17, 0
	v_lshl_add_u64 v[146:147], v[82:83], 3, v[0:1]
	v_mov_b32_e32 v123, v115
	v_mad_u64_u32 v[80:81], s[6:7], s5, v80, v[22:23]
	v_mov_b32_e32 v22, v145
	global_store_dwordx2 v[146:147], v[122:123], off
	v_pk_mul_f32 v[122:123], v[72:73], s[42:43] op_sel:[1,0] op_sel_hi:[0,0]
	v_mov_b32_e32 v179, v126
	v_mov_b32_e32 v141, v90
	;; [unrolled: 1-line block ×3, first 2 shown]
	v_mad_u64_u32 v[80:81], s[4:5], s5, v17, v[22:23]
	v_lshl_add_u64 v[126:127], v[86:87], 3, v[0:1]
	v_lshl_add_u64 v[86:87], v[136:137], 3, v[0:1]
	v_pk_fma_f32 v[124:125], v[68:69], s[2:3], v[122:123] op_sel_hi:[1,0,1]
	v_pk_fma_f32 v[136:137], v[68:69], s[2:3], v[122:123] op_sel_hi:[1,0,1] neg_lo:[0,0,1] neg_hi:[0,0,1]
	v_pk_mul_f32 v[122:123], v[64:65], s[38:39] op_sel:[1,0] op_sel_hi:[0,0]
	v_mov_b32_e32 v145, v80
	v_lshl_add_u64 v[148:149], v[84:85], 3, v[0:1]
	v_lshl_add_u64 v[84:85], v[138:139], 3, v[0:1]
	;; [unrolled: 1-line block ×3, first 2 shown]
	v_pk_fma_f32 v[138:139], v[62:63], s[8:9], v[122:123] op_sel_hi:[1,0,1]
	v_pk_fma_f32 v[140:141], v[62:63], s[8:9], v[122:123] op_sel_hi:[1,0,1] neg_lo:[0,0,1] neg_hi:[0,0,1]
	v_pk_mul_f32 v[122:123], v[60:61], s[56:57] op_sel:[1,0] op_sel_hi:[0,0]
	v_lshl_add_u64 v[118:119], v[88:89], 3, v[0:1]
	v_lshl_add_u64 v[112:113], v[130:131], 3, v[0:1]
	;; [unrolled: 1-line block ×10, first 2 shown]
	v_pk_fma_f32 v[142:143], v[36:37], s[16:17], v[122:123] op_sel_hi:[1,0,1]
	v_pk_fma_f32 v[144:145], v[36:37], s[16:17], v[122:123] op_sel_hi:[1,0,1] neg_lo:[0,0,1] neg_hi:[0,0,1]
	v_pk_mul_f32 v[122:123], v[28:29], s[60:61] op_sel:[1,0] op_sel_hi:[0,0]
	v_mul_f32_e32 v131, 0x3f3d2fb0, v129
	v_mul_f32_e32 v17, 0xbf2c7751, v181
	v_pk_mul_f32 v[114:115], v[20:21], s[36:37] op_sel_hi:[1,0]
	v_pk_fma_f32 v[146:147], v[18:19], s[20:21], v[122:123] op_sel_hi:[1,0,1]
	v_pk_fma_f32 v[150:151], v[18:19], s[20:21], v[122:123] op_sel_hi:[1,0,1] neg_lo:[0,0,1] neg_hi:[0,0,1]
	v_pk_mul_f32 v[122:123], v[30:31], s[44:45] op_sel:[1,0] op_sel_hi:[0,0]
	v_fmamk_f32 v133, v128, 0x3f2c7751, v131
	v_fmamk_f32 v132, v180, 0x3f3d2fb0, v17
	v_pk_fma_f32 v[116:117], v[14:15], s[14:15], v[114:115] op_sel_hi:[1,0,1]
	v_pk_fma_f32 v[114:115], v[14:15], s[14:15], v[114:115] op_sel_hi:[1,0,1] neg_lo:[0,0,1] neg_hi:[0,0,1]
	v_pk_fma_f32 v[152:153], v[24:25], s[40:41], v[122:123] op_sel_hi:[1,0,1]
	v_pk_fma_f32 v[154:155], v[24:25], s[40:41], v[122:123] op_sel_hi:[1,0,1] neg_lo:[0,0,1] neg_hi:[0,0,1]
	v_pk_mul_f32 v[122:123], v[34:35], s[28:29] op_sel:[1,0] op_sel_hi:[0,0]
	v_fma_f32 v130, v180, s0, -v17
	v_fmac_f32_e32 v131, 0xbf2c7751, v128
	v_mov_b32_e32 v120, v116
	v_mov_b32_e32 v121, v115
	v_pk_fma_f32 v[156:157], v[32:33], s[18:19], v[122:123] op_sel_hi:[1,0,1]
	v_pk_fma_f32 v[158:159], v[32:33], s[18:19], v[122:123] op_sel_hi:[1,0,1] neg_lo:[0,0,1] neg_hi:[0,0,1]
	v_pk_add_f32 v[122:123], v[132:133], v[2:3]
	v_mov_b32_e32 v115, v117
	v_pk_add_f32 v[116:117], v[130:131], v[2:3]
	v_pk_add_f32 v[120:121], v[120:121], v[122:123]
	v_mov_b32_e32 v122, v156
	v_mov_b32_e32 v123, v159
	v_mov_b32_e32 v159, v157
	v_pk_add_f32 v[114:115], v[114:115], v[116:117]
	v_pk_add_f32 v[120:121], v[122:123], v[120:121]
	v_mov_b32_e32 v122, v152
	v_mov_b32_e32 v123, v155
	;; [unrolled: 5-line block ×6, first 2 shown]
	v_pk_add_f32 v[114:115], v[140:141], v[114:115]
	v_mul_f32_e32 v135, 0x3ee437d1, v129
	v_pk_add_f32 v[114:115], v[136:137], v[114:115]
	v_mul_f32_e32 v22, 0xbf65296c, v181
	v_pk_mul_f32 v[110:111], v[114:115], v[110:111] op_sel_hi:[1,0]
	v_mov_b32_e32 v122, v124
	v_pk_fma_f32 v[116:117], v[114:115], v[108:109], v[110:111] op_sel:[0,0,1] op_sel_hi:[1,1,0] neg_lo:[0,0,1] neg_hi:[0,0,1]
	v_pk_fma_f32 v[108:109], v[114:115], v[108:109], v[110:111] op_sel:[0,0,1] op_sel_hi:[1,0,0]
	v_pk_mul_f32 v[114:115], v[72:73], s[30:31] op_sel:[1,0] op_sel_hi:[0,0]
	v_pk_fma_f32 v[130:131], v[68:69], s[20:21], v[114:115] op_sel_hi:[1,0,1]
	v_pk_fma_f32 v[136:137], v[68:69], s[20:21], v[114:115] op_sel_hi:[1,0,1] neg_lo:[0,0,1] neg_hi:[0,0,1]
	v_pk_mul_f32 v[114:115], v[64:65], s[36:37] op_sel:[1,0] op_sel_hi:[0,0]
	v_pk_fma_f32 v[138:139], v[62:63], s[14:15], v[114:115] op_sel_hi:[1,0,1]
	v_pk_fma_f32 v[140:141], v[62:63], s[14:15], v[114:115] op_sel_hi:[1,0,1] neg_lo:[0,0,1] neg_hi:[0,0,1]
	v_pk_mul_f32 v[114:115], v[60:61], s[34:35] op_sel:[1,0] op_sel_hi:[0,0]
	v_mov_b32_e32 v117, v109
	v_pk_fma_f32 v[142:143], v[36:37], s[2:3], v[114:115] op_sel_hi:[1,0,1]
	v_pk_fma_f32 v[144:145], v[36:37], s[2:3], v[114:115] op_sel_hi:[1,0,1] neg_lo:[0,0,1] neg_hi:[0,0,1]
	v_pk_mul_f32 v[114:115], v[28:29], s[48:49] op_sel:[1,0] op_sel_hi:[0,0]
	global_store_dwordx2 v[148:149], v[116:117], off
	v_pk_mul_f32 v[108:109], v[20:21], s[28:29] op_sel_hi:[1,0]
	v_pk_fma_f32 v[146:147], v[18:19], s[0:1], v[114:115] op_sel_hi:[1,0,1]
	v_pk_fma_f32 v[148:149], v[18:19], s[0:1], v[114:115] op_sel_hi:[1,0,1] neg_lo:[0,0,1] neg_hi:[0,0,1]
	v_pk_mul_f32 v[114:115], v[30:31], s[56:57] op_sel:[1,0] op_sel_hi:[0,0]
	v_fmamk_f32 v133, v128, 0x3f65296c, v135
	v_fmamk_f32 v132, v180, 0x3ee437d1, v22
	v_pk_fma_f32 v[110:111], v[14:15], s[18:19], v[108:109] op_sel_hi:[1,0,1]
	v_pk_fma_f32 v[124:125], v[14:15], s[18:19], v[108:109] op_sel_hi:[1,0,1] neg_lo:[0,0,1] neg_hi:[0,0,1]
	v_pk_fma_f32 v[150:151], v[24:25], s[16:17], v[114:115] op_sel_hi:[1,0,1]
	v_pk_fma_f32 v[152:153], v[24:25], s[16:17], v[114:115] op_sel_hi:[1,0,1] neg_lo:[0,0,1] neg_hi:[0,0,1]
	v_pk_mul_f32 v[114:115], v[34:35], s[62:63] op_sel:[1,0] op_sel_hi:[0,0]
	v_mov_b32_e32 v108, v110
	v_mov_b32_e32 v109, v125
	v_pk_fma_f32 v[154:155], v[32:33], s[40:41], v[114:115] op_sel_hi:[1,0,1]
	v_pk_fma_f32 v[156:157], v[32:33], s[40:41], v[114:115] op_sel_hi:[1,0,1] neg_lo:[0,0,1] neg_hi:[0,0,1]
	v_pk_add_f32 v[114:115], v[132:133], v[2:3]
	v_pk_add_f32 v[120:121], v[122:123], v[120:121]
	v_pk_add_f32 v[108:109], v[108:109], v[114:115]
	v_mov_b32_e32 v114, v154
	v_mov_b32_e32 v115, v157
	v_pk_add_f32 v[108:109], v[114:115], v[108:109]
	v_mov_b32_e32 v114, v150
	v_mov_b32_e32 v115, v153
	v_pk_add_f32 v[108:109], v[114:115], v[108:109]
	;; [unrolled: 3-line block ×6, first 2 shown]
	v_pk_mul_f32 v[122:123], v[120:121], v[98:99] op_sel_hi:[1,0]
	v_pk_mul_f32 v[114:115], v[108:109], v[96:97] op_sel_hi:[1,0]
	v_pk_fma_f32 v[98:99], v[120:121], v[94:95], v[122:123] op_sel:[0,0,1] op_sel_hi:[1,1,0] neg_lo:[0,0,1] neg_hi:[0,0,1]
	v_pk_fma_f32 v[94:95], v[120:121], v[94:95], v[122:123] op_sel:[0,0,1] op_sel_hi:[1,0,0]
	v_mul_f32_e32 v161, 0x3dbcf732, v129
	v_mul_f32_e32 v121, 0xbe8c1d8e, v129
	v_pk_fma_f32 v[96:97], v[108:109], v[74:75], v[114:115] op_sel:[0,0,1] op_sel_hi:[1,1,0] neg_lo:[0,0,1] neg_hi:[0,0,1]
	v_pk_fma_f32 v[74:75], v[108:109], v[74:75], v[114:115] op_sel:[0,0,1] op_sel_hi:[1,0,0]
	v_mul_f32_e32 v115, 0xbf59a7d5, v129
	v_mul_f32_e32 v109, 0xbf7ba420, v129
	v_fma_f32 v134, v180, s8, -v22
	v_mul_f32_e32 v133, 0xbf1a4643, v129
	v_fmac_f32_e32 v135, 0xbf65296c, v128
	v_fmamk_f32 v163, v128, 0x3f7ee86f, v161
	v_fmamk_f32 v123, v128, 0x3f763a35, v121
	v_mov_b32_e32 v125, v111
	v_fmamk_f32 v159, v128, 0x3f4c4adb, v133
	v_fmamk_f32 v117, v128, 0x3f06c442, v115
	;; [unrolled: 1-line block ×3, first 2 shown]
	v_fmac_f32_e32 v109, 0xbe3c28d5, v128
	v_fmac_f32_e32 v115, 0xbf06c442, v128
	;; [unrolled: 1-line block ×5, first 2 shown]
	v_pk_add_f32 v[128:129], v[134:135], v[2:3]
	v_mov_b32_e32 v157, v155
	v_pk_add_f32 v[124:125], v[124:125], v[128:129]
	v_mov_b32_e32 v153, v151
	;; [unrolled: 2-line block ×6, first 2 shown]
	v_pk_add_f32 v[124:125], v[140:141], v[124:125]
	v_mul_f32_e32 v17, 0xbf7ee86f, v181
	v_pk_add_f32 v[124:125], v[136:137], v[124:125]
	v_fmamk_f32 v162, v180, 0x3dbcf732, v17
	v_pk_mul_f32 v[102:103], v[124:125], v[102:103] op_sel_hi:[1,0]
	v_pk_mul_f32 v[152:153], v[34:35], s[56:57] op_sel:[1,0] op_sel_hi:[0,0]
	v_pk_fma_f32 v[128:129], v[124:125], v[100:101], v[102:103] op_sel:[0,0,1] op_sel_hi:[1,1,0] neg_lo:[0,0,1] neg_hi:[0,0,1]
	v_pk_fma_f32 v[100:101], v[124:125], v[100:101], v[102:103] op_sel:[0,0,1] op_sel_hi:[1,0,0]
	v_pk_mul_f32 v[148:149], v[30:31], s[42:43] op_sel:[1,0] op_sel_hi:[0,0]
	v_mov_b32_e32 v129, v101
	v_pk_mul_f32 v[100:101], v[20:21], s[44:45] op_sel_hi:[1,0]
	v_pk_fma_f32 v[154:155], v[32:33], s[16:17], v[152:153] op_sel_hi:[1,0,1]
	v_pk_fma_f32 v[102:103], v[14:15], s[40:41], v[100:101] op_sel_hi:[1,0,1]
	v_pk_fma_f32 v[100:101], v[14:15], s[40:41], v[100:101] op_sel_hi:[1,0,1] neg_lo:[0,0,1] neg_hi:[0,0,1]
	v_mov_b32_e32 v124, v102
	v_mov_b32_e32 v125, v101
	v_pk_fma_f32 v[152:153], v[32:33], s[16:17], v[152:153] op_sel_hi:[1,0,1] neg_lo:[0,0,1] neg_hi:[0,0,1]
	v_pk_add_f32 v[156:157], v[162:163], v[2:3]
	v_pk_mul_f32 v[144:145], v[28:29], s[50:51] op_sel:[1,0] op_sel_hi:[0,0]
	v_pk_fma_f32 v[150:151], v[24:25], s[2:3], v[148:149] op_sel_hi:[1,0,1]
	v_pk_fma_f32 v[148:149], v[24:25], s[2:3], v[148:149] op_sel_hi:[1,0,1] neg_lo:[0,0,1] neg_hi:[0,0,1]
	v_pk_add_f32 v[124:125], v[124:125], v[156:157]
	v_mov_b32_e32 v156, v154
	v_mov_b32_e32 v157, v153
	v_pk_mul_f32 v[140:141], v[60:61], s[30:31] op_sel:[1,0] op_sel_hi:[0,0]
	v_pk_fma_f32 v[146:147], v[18:19], s[8:9], v[144:145] op_sel_hi:[1,0,1]
	v_pk_fma_f32 v[144:145], v[18:19], s[8:9], v[144:145] op_sel_hi:[1,0,1] neg_lo:[0,0,1] neg_hi:[0,0,1]
	v_pk_add_f32 v[124:125], v[156:157], v[124:125]
	v_mov_b32_e32 v156, v150
	v_mov_b32_e32 v157, v149
	;; [unrolled: 6-line block ×3, first 2 shown]
	global_store_dwordx2 v[126:127], v[128:129], off
	v_pk_mul_f32 v[126:127], v[72:73], s[48:49] op_sel:[1,0] op_sel_hi:[0,0]
	v_pk_fma_f32 v[136:137], v[62:63], s[18:19], v[134:135] op_sel_hi:[1,0,1]
	v_pk_fma_f32 v[134:135], v[62:63], s[18:19], v[134:135] op_sel_hi:[1,0,1] neg_lo:[0,0,1] neg_hi:[0,0,1]
	v_pk_add_f32 v[124:125], v[156:157], v[124:125]
	v_mov_b32_e32 v156, v142
	v_mov_b32_e32 v157, v141
	v_pk_fma_f32 v[128:129], v[68:69], s[0:1], v[126:127] op_sel_hi:[1,0,1]
	v_pk_fma_f32 v[126:127], v[68:69], s[0:1], v[126:127] op_sel_hi:[1,0,1] neg_lo:[0,0,1] neg_hi:[0,0,1]
	v_mov_b32_e32 v138, v136
	v_mov_b32_e32 v139, v135
	v_pk_add_f32 v[124:125], v[156:157], v[124:125]
	v_mov_b32_e32 v130, v128
	v_mov_b32_e32 v131, v127
	v_pk_add_f32 v[124:125], v[138:139], v[124:125]
	v_fma_f32 v160, v180, s14, -v17
	v_pk_add_f32 v[124:125], v[130:131], v[124:125]
	v_mov_b32_e32 v101, v103
	v_pk_mul_f32 v[130:131], v[124:125], v[70:71] op_sel_hi:[1,0]
	v_mov_b32_e32 v153, v155
	v_pk_fma_f32 v[70:71], v[124:125], v[66:67], v[130:131] op_sel:[0,0,1] op_sel_hi:[1,1,0] neg_lo:[0,0,1] neg_hi:[0,0,1]
	v_pk_fma_f32 v[66:67], v[124:125], v[66:67], v[130:131] op_sel:[0,0,1] op_sel_hi:[1,0,0]
	v_pk_add_f32 v[124:125], v[160:161], v[2:3]
	v_mov_b32_e32 v149, v151
	v_pk_add_f32 v[100:101], v[100:101], v[124:125]
	v_mov_b32_e32 v145, v147
	;; [unrolled: 2-line block ×5, first 2 shown]
	v_pk_add_f32 v[100:101], v[140:141], v[100:101]
	v_mul_f32_e32 v74, 0xbf763a35, v181
	v_pk_add_f32 v[100:101], v[134:135], v[100:101]
	v_fmamk_f32 v122, v180, 0xbe8c1d8e, v74
	v_pk_add_f32 v[100:101], v[126:127], v[100:101]
	v_pk_mul_f32 v[152:153], v[34:35], s[48:49] op_sel:[1,0] op_sel_hi:[0,0]
	v_pk_mul_f32 v[78:79], v[100:101], v[78:79] op_sel_hi:[1,0]
	v_pk_mul_f32 v[146:147], v[30:31], s[50:51] op_sel:[1,0] op_sel_hi:[0,0]
	v_pk_fma_f32 v[102:103], v[100:101], v[76:77], v[78:79] op_sel:[0,0,1] op_sel_hi:[1,1,0] neg_lo:[0,0,1] neg_hi:[0,0,1]
	v_pk_fma_f32 v[76:77], v[100:101], v[76:77], v[78:79] op_sel:[0,0,1] op_sel_hi:[1,0,0]
	v_pk_fma_f32 v[154:155], v[32:33], s[0:1], v[152:153] op_sel_hi:[1,0,1]
	v_mov_b32_e32 v103, v77
	v_pk_mul_f32 v[76:77], v[20:21], s[60:61] op_sel_hi:[1,0]
	v_pk_fma_f32 v[152:153], v[32:33], s[0:1], v[152:153] op_sel_hi:[1,0,1] neg_lo:[0,0,1] neg_hi:[0,0,1]
	v_pk_fma_f32 v[78:79], v[14:15], s[20:21], v[76:77] op_sel_hi:[1,0,1]
	v_pk_fma_f32 v[76:77], v[14:15], s[20:21], v[76:77] op_sel_hi:[1,0,1] neg_lo:[0,0,1] neg_hi:[0,0,1]
	v_mov_b32_e32 v100, v78
	v_mov_b32_e32 v101, v77
	v_pk_add_f32 v[122:123], v[122:123], v[2:3]
	v_pk_mul_f32 v[140:141], v[28:29], s[44:45] op_sel:[1,0] op_sel_hi:[0,0]
	v_pk_fma_f32 v[148:149], v[24:25], s[8:9], v[146:147] op_sel_hi:[1,0,1]
	v_pk_fma_f32 v[146:147], v[24:25], s[8:9], v[146:147] op_sel_hi:[1,0,1] neg_lo:[0,0,1] neg_hi:[0,0,1]
	v_mov_b32_e32 v156, v154
	v_mov_b32_e32 v157, v153
	v_pk_add_f32 v[100:101], v[100:101], v[122:123]
	v_pk_mul_f32 v[134:135], v[60:61], s[54:55] op_sel:[1,0] op_sel_hi:[0,0]
	;; [unrolled: 6-line block ×3, first 2 shown]
	v_pk_fma_f32 v[136:137], v[36:37], s[14:15], v[134:135] op_sel_hi:[1,0,1]
	v_pk_fma_f32 v[134:135], v[36:37], s[14:15], v[134:135] op_sel_hi:[1,0,1] neg_lo:[0,0,1] neg_hi:[0,0,1]
	v_mov_b32_e32 v144, v142
	v_mov_b32_e32 v145, v141
	v_pk_add_f32 v[100:101], v[150:151], v[100:101]
	global_store_dwordx2 v[118:119], v[102:103], off
	v_pk_mul_f32 v[102:103], v[72:73], s[28:29] op_sel:[1,0] op_sel_hi:[0,0]
	v_pk_fma_f32 v[128:129], v[62:63], s[2:3], v[126:127] op_sel_hi:[1,0,1]
	v_pk_fma_f32 v[126:127], v[62:63], s[2:3], v[126:127] op_sel_hi:[1,0,1] neg_lo:[0,0,1] neg_hi:[0,0,1]
	v_mov_b32_e32 v138, v136
	v_mov_b32_e32 v139, v135
	v_pk_add_f32 v[100:101], v[144:145], v[100:101]
	v_pk_fma_f32 v[118:119], v[68:69], s[18:19], v[102:103] op_sel_hi:[1,0,1]
	v_pk_fma_f32 v[102:103], v[68:69], s[18:19], v[102:103] op_sel_hi:[1,0,1] neg_lo:[0,0,1] neg_hi:[0,0,1]
	v_mov_b32_e32 v130, v128
	v_mov_b32_e32 v131, v127
	v_pk_add_f32 v[100:101], v[138:139], v[100:101]
	v_mov_b32_e32 v124, v118
	v_mov_b32_e32 v125, v103
	v_pk_add_f32 v[100:101], v[130:131], v[100:101]
	v_fma_f32 v120, v180, s16, -v74
	v_pk_add_f32 v[100:101], v[124:125], v[100:101]
	v_mov_b32_e32 v77, v79
	v_pk_mul_f32 v[122:123], v[100:101], v[54:55] op_sel_hi:[1,0]
	v_mov_b32_e32 v153, v155
	v_pk_fma_f32 v[54:55], v[100:101], v[52:53], v[122:123] op_sel:[0,0,1] op_sel_hi:[1,1,0] neg_lo:[0,0,1] neg_hi:[0,0,1]
	v_pk_fma_f32 v[52:53], v[100:101], v[52:53], v[122:123] op_sel:[0,0,1] op_sel_hi:[1,0,0]
	v_pk_add_f32 v[100:101], v[120:121], v[2:3]
	v_mov_b32_e32 v147, v149
	v_pk_add_f32 v[76:77], v[76:77], v[100:101]
	v_mov_b32_e32 v141, v143
	;; [unrolled: 2-line block ×5, first 2 shown]
	v_pk_add_f32 v[76:77], v[134:135], v[76:77]
	v_mul_f32_e32 v94, 0xbf4c4adb, v181
	v_pk_add_f32 v[76:77], v[126:127], v[76:77]
	v_fmamk_f32 v158, v180, 0xbf1a4643, v94
	v_pk_add_f32 v[76:77], v[102:103], v[76:77]
	v_pk_mul_f32 v[142:143], v[34:35], s[34:35] op_sel:[1,0] op_sel_hi:[0,0]
	v_pk_mul_f32 v[58:59], v[76:77], v[58:59] op_sel_hi:[1,0]
	v_pk_mul_f32 v[136:137], v[30:31], s[30:31] op_sel:[1,0] op_sel_hi:[0,0]
	v_pk_fma_f32 v[78:79], v[76:77], v[56:57], v[58:59] op_sel:[0,0,1] op_sel_hi:[1,1,0] neg_lo:[0,0,1] neg_hi:[0,0,1]
	v_pk_fma_f32 v[56:57], v[76:77], v[56:57], v[58:59] op_sel:[0,0,1] op_sel_hi:[1,0,0]
	v_pk_fma_f32 v[144:145], v[32:33], s[2:3], v[142:143] op_sel_hi:[1,0,1]
	v_mov_b32_e32 v79, v57
	v_pk_mul_f32 v[56:57], v[20:21], s[56:57] op_sel_hi:[1,0]
	v_pk_fma_f32 v[142:143], v[32:33], s[2:3], v[142:143] op_sel_hi:[1,0,1] neg_lo:[0,0,1] neg_hi:[0,0,1]
	v_pk_fma_f32 v[58:59], v[14:15], s[16:17], v[56:57] op_sel_hi:[1,0,1]
	v_pk_fma_f32 v[56:57], v[14:15], s[16:17], v[56:57] op_sel_hi:[1,0,1] neg_lo:[0,0,1] neg_hi:[0,0,1]
	v_mov_b32_e32 v76, v58
	v_mov_b32_e32 v77, v57
	v_pk_add_f32 v[148:149], v[158:159], v[2:3]
	v_pk_mul_f32 v[128:129], v[28:29], s[54:55] op_sel:[1,0] op_sel_hi:[0,0]
	v_pk_fma_f32 v[138:139], v[24:25], s[20:21], v[136:137] op_sel_hi:[1,0,1]
	v_pk_fma_f32 v[136:137], v[24:25], s[20:21], v[136:137] op_sel_hi:[1,0,1] neg_lo:[0,0,1] neg_hi:[0,0,1]
	v_mov_b32_e32 v146, v144
	v_mov_b32_e32 v147, v143
	v_pk_add_f32 v[76:77], v[76:77], v[148:149]
	v_pk_mul_f32 v[122:123], v[60:61], s[46:47] op_sel:[1,0] op_sel_hi:[0,0]
	v_pk_fma_f32 v[130:131], v[18:19], s[14:15], v[128:129] op_sel_hi:[1,0,1]
	v_pk_fma_f32 v[128:129], v[18:19], s[14:15], v[128:129] op_sel_hi:[1,0,1] neg_lo:[0,0,1] neg_hi:[0,0,1]
	v_mov_b32_e32 v140, v138
	v_mov_b32_e32 v141, v137
	v_pk_add_f32 v[76:77], v[146:147], v[76:77]
	global_store_dwordx2 v[112:113], v[78:79], off
	v_pk_mul_f32 v[112:113], v[64:65], s[44:45] op_sel:[1,0] op_sel_hi:[0,0]
	v_pk_fma_f32 v[124:125], v[36:37], s[0:1], v[122:123] op_sel_hi:[1,0,1]
	v_pk_fma_f32 v[122:123], v[36:37], s[0:1], v[122:123] op_sel_hi:[1,0,1] neg_lo:[0,0,1] neg_hi:[0,0,1]
	v_mov_b32_e32 v134, v130
	v_mov_b32_e32 v135, v129
	v_pk_add_f32 v[76:77], v[140:141], v[76:77]
	v_pk_mul_f32 v[78:79], v[72:73], s[38:39] op_sel:[1,0] op_sel_hi:[0,0]
	v_pk_fma_f32 v[118:119], v[62:63], s[40:41], v[112:113] op_sel_hi:[1,0,1]
	v_pk_fma_f32 v[112:113], v[62:63], s[40:41], v[112:113] op_sel_hi:[1,0,1] neg_lo:[0,0,1] neg_hi:[0,0,1]
	v_mov_b32_e32 v126, v124
	v_mov_b32_e32 v127, v123
	v_pk_add_f32 v[76:77], v[134:135], v[76:77]
	v_pk_fma_f32 v[100:101], v[68:69], s[8:9], v[78:79] op_sel_hi:[1,0,1]
	v_pk_fma_f32 v[78:79], v[68:69], s[8:9], v[78:79] op_sel_hi:[1,0,1] neg_lo:[0,0,1] neg_hi:[0,0,1]
	v_mov_b32_e32 v120, v118
	v_mov_b32_e32 v121, v113
	v_pk_add_f32 v[76:77], v[126:127], v[76:77]
	v_mov_b32_e32 v102, v100
	v_mov_b32_e32 v103, v79
	v_pk_add_f32 v[76:77], v[120:121], v[76:77]
	v_fma_f32 v132, v180, s18, -v94
	v_pk_add_f32 v[76:77], v[102:103], v[76:77]
	v_mov_b32_e32 v57, v59
	v_pk_mul_f32 v[48:49], v[76:77], v[48:49] op_sel_hi:[1,0]
	v_mov_b32_e32 v143, v145
	v_pk_fma_f32 v[102:103], v[76:77], v[44:45], v[48:49] op_sel:[0,0,1] op_sel_hi:[1,1,0] neg_lo:[0,0,1] neg_hi:[0,0,1]
	v_pk_fma_f32 v[44:45], v[76:77], v[44:45], v[48:49] op_sel:[0,0,1] op_sel_hi:[1,0,0]
	v_pk_add_f32 v[48:49], v[132:133], v[2:3]
	v_mov_b32_e32 v137, v139
	v_pk_add_f32 v[48:49], v[56:57], v[48:49]
	v_mov_b32_e32 v129, v131
	;; [unrolled: 2-line block ×5, first 2 shown]
	v_pk_add_f32 v[48:49], v[122:123], v[48:49]
	v_mul_f32_e32 v116, 0xbf06c442, v181
	v_pk_add_f32 v[48:49], v[112:113], v[48:49]
	v_fma_f32 v114, v180, s20, -v116
	v_pk_add_f32 v[48:49], v[78:79], v[48:49]
	v_fmac_f32_e32 v116, 0xbf59a7d5, v180
	v_pk_mul_f32 v[50:51], v[48:49], v[50:51] op_sel_hi:[1,0]
	v_pk_mul_f32 v[134:135], v[34:35], s[36:37] op_sel:[1,0] op_sel_hi:[0,0]
	v_pk_fma_f32 v[56:57], v[48:49], v[46:47], v[50:51] op_sel:[0,0,1] op_sel_hi:[1,1,0] neg_lo:[0,0,1] neg_hi:[0,0,1]
	v_pk_fma_f32 v[46:47], v[48:49], v[46:47], v[50:51] op_sel:[0,0,1] op_sel_hi:[1,0,0]
	v_pk_mul_f32 v[128:129], v[30:31], s[58:59] op_sel:[1,0] op_sel_hi:[0,0]
	v_mov_b32_e32 v57, v47
	v_pk_mul_f32 v[46:47], v[20:21], s[38:39] op_sel_hi:[1,0]
	v_pk_fma_f32 v[136:137], v[32:33], s[14:15], v[134:135] op_sel_hi:[1,0,1]
	v_pk_fma_f32 v[48:49], v[14:15], s[8:9], v[46:47] op_sel_hi:[1,0,1]
	v_pk_fma_f32 v[46:47], v[14:15], s[8:9], v[46:47] op_sel_hi:[1,0,1] neg_lo:[0,0,1] neg_hi:[0,0,1]
	v_mov_b32_e32 v50, v48
	v_mov_b32_e32 v51, v47
	v_pk_fma_f32 v[134:135], v[32:33], s[14:15], v[134:135] op_sel_hi:[1,0,1] neg_lo:[0,0,1] neg_hi:[0,0,1]
	v_pk_add_f32 v[116:117], v[116:117], v[2:3]
	v_pk_mul_f32 v[122:123], v[28:29], s[34:35] op_sel:[1,0] op_sel_hi:[0,0]
	v_pk_fma_f32 v[130:131], v[24:25], s[18:19], v[128:129] op_sel_hi:[1,0,1]
	v_pk_fma_f32 v[128:129], v[24:25], s[18:19], v[128:129] op_sel_hi:[1,0,1] neg_lo:[0,0,1] neg_hi:[0,0,1]
	v_mov_b32_e32 v138, v136
	v_mov_b32_e32 v139, v135
	v_pk_add_f32 v[50:51], v[50:51], v[116:117]
	v_pk_mul_f32 v[112:113], v[60:61], s[44:45] op_sel:[1,0] op_sel_hi:[0,0]
	v_pk_fma_f32 v[124:125], v[18:19], s[2:3], v[122:123] op_sel_hi:[1,0,1]
	v_pk_fma_f32 v[122:123], v[18:19], s[2:3], v[122:123] op_sel_hi:[1,0,1] neg_lo:[0,0,1] neg_hi:[0,0,1]
	v_mov_b32_e32 v132, v130
	v_mov_b32_e32 v133, v129
	v_pk_add_f32 v[50:51], v[138:139], v[50:51]
	v_pk_mul_f32 v[78:79], v[64:65], s[48:49] op_sel:[1,0] op_sel_hi:[0,0]
	v_pk_fma_f32 v[118:119], v[36:37], s[40:41], v[112:113] op_sel_hi:[1,0,1]
	v_pk_fma_f32 v[112:113], v[36:37], s[40:41], v[112:113] op_sel_hi:[1,0,1] neg_lo:[0,0,1] neg_hi:[0,0,1]
	v_mov_b32_e32 v126, v124
	v_mov_b32_e32 v127, v123
	v_pk_add_f32 v[50:51], v[132:133], v[50:51]
	global_store_dwordx2 v[106:107], v[56:57], off
	v_pk_mul_f32 v[56:57], v[72:73], s[22:23] op_sel:[1,0] op_sel_hi:[0,0]
	v_pk_fma_f32 v[100:101], v[62:63], s[0:1], v[78:79] op_sel_hi:[1,0,1]
	v_pk_fma_f32 v[78:79], v[62:63], s[0:1], v[78:79] op_sel_hi:[1,0,1] neg_lo:[0,0,1] neg_hi:[0,0,1]
	v_mov_b32_e32 v120, v118
	v_mov_b32_e32 v121, v113
	v_pk_add_f32 v[50:51], v[126:127], v[50:51]
	v_pk_fma_f32 v[58:59], v[68:69], s[16:17], v[56:57] op_sel_hi:[1,0,1]
	v_pk_fma_f32 v[56:57], v[68:69], s[16:17], v[56:57] op_sel_hi:[1,0,1] neg_lo:[0,0,1] neg_hi:[0,0,1]
	v_mov_b32_e32 v106, v100
	v_mov_b32_e32 v107, v79
	v_pk_add_f32 v[50:51], v[120:121], v[50:51]
	v_mov_b32_e32 v76, v58
	v_mov_b32_e32 v77, v57
	v_pk_add_f32 v[50:51], v[106:107], v[50:51]
	v_mov_b32_e32 v47, v49
	v_pk_add_f32 v[50:51], v[76:77], v[50:51]
	v_mov_b32_e32 v135, v137
	v_pk_mul_f32 v[42:43], v[50:51], v[42:43] op_sel_hi:[1,0]
	v_mov_b32_e32 v129, v131
	v_pk_fma_f32 v[76:77], v[50:51], v[40:41], v[42:43] op_sel:[0,0,1] op_sel_hi:[1,1,0] neg_lo:[0,0,1] neg_hi:[0,0,1]
	v_pk_fma_f32 v[40:41], v[50:51], v[40:41], v[42:43] op_sel:[0,0,1] op_sel_hi:[1,0,0]
	v_pk_add_f32 v[42:43], v[114:115], v[2:3]
	v_mov_b32_e32 v123, v125
	v_pk_add_f32 v[42:43], v[46:47], v[42:43]
	v_mov_b32_e32 v113, v119
	;; [unrolled: 2-line block ×4, first 2 shown]
	v_pk_add_f32 v[42:43], v[122:123], v[42:43]
	v_mul_f32_e32 v110, 0xbe3c28d5, v181
	v_pk_add_f32 v[42:43], v[112:113], v[42:43]
	v_fma_f32 v108, v180, s40, -v110
	v_pk_add_f32 v[42:43], v[78:79], v[42:43]
	v_fmac_f32_e32 v110, 0xbf7ba420, v180
	v_pk_add_f32 v[42:43], v[56:57], v[42:43]
	v_pk_mul_f32 v[34:35], v[34:35], s[30:31] op_sel:[1,0] op_sel_hi:[0,0]
	v_pk_mul_f32 v[26:27], v[42:43], v[26:27] op_sel_hi:[1,0]
	v_pk_mul_f32 v[30:31], v[30:31], s[48:49] op_sel:[1,0] op_sel_hi:[0,0]
	v_pk_fma_f32 v[46:47], v[42:43], v[12:13], v[26:27] op_sel:[0,0,1] op_sel_hi:[1,1,0] neg_lo:[0,0,1] neg_hi:[0,0,1]
	v_pk_fma_f32 v[12:13], v[42:43], v[12:13], v[26:27] op_sel:[0,0,1] op_sel_hi:[1,0,0]
	v_pk_mul_f32 v[26:27], v[72:73], s[54:55] op_sel:[1,0] op_sel_hi:[0,0]
	v_mov_b32_e32 v47, v13
	v_pk_mul_f32 v[12:13], v[20:21], s[42:43] op_sel_hi:[1,0]
	v_pk_fma_f32 v[42:43], v[68:69], s[14:15], v[26:27] op_sel_hi:[1,0,1]
	v_pk_fma_f32 v[20:21], v[14:15], s[2:3], v[12:13] op_sel_hi:[1,0,1]
	v_pk_fma_f32 v[12:13], v[14:15], s[2:3], v[12:13] op_sel_hi:[1,0,1] neg_lo:[0,0,1] neg_hi:[0,0,1]
	v_mov_b32_e32 v14, v20
	v_mov_b32_e32 v15, v13
	v_pk_fma_f32 v[26:27], v[68:69], s[14:15], v[26:27] op_sel_hi:[1,0,1] neg_lo:[0,0,1] neg_hi:[0,0,1]
	v_pk_fma_f32 v[68:69], v[32:33], s[20:21], v[34:35] op_sel_hi:[1,0,1]
	v_pk_fma_f32 v[32:33], v[32:33], s[20:21], v[34:35] op_sel_hi:[1,0,1] neg_lo:[0,0,1] neg_hi:[0,0,1]
	v_pk_add_f32 v[72:73], v[110:111], v[2:3]
	v_pk_add_f32 v[2:3], v[108:109], v[2:3]
	v_mov_b32_e32 v13, v21
	v_pk_mul_f32 v[48:49], v[64:65], s[22:23] op_sel:[1,0] op_sel_hi:[0,0]
	v_pk_mul_f32 v[28:29], v[28:29], s[28:29] op_sel:[1,0] op_sel_hi:[0,0]
	v_pk_fma_f32 v[64:65], v[24:25], s[0:1], v[30:31] op_sel_hi:[1,0,1]
	v_pk_fma_f32 v[24:25], v[24:25], s[0:1], v[30:31] op_sel_hi:[1,0,1] neg_lo:[0,0,1] neg_hi:[0,0,1]
	v_mov_b32_e32 v34, v68
	v_mov_b32_e32 v35, v33
	v_pk_add_f32 v[14:15], v[14:15], v[72:73]
	v_mov_b32_e32 v33, v69
	v_pk_add_f32 v[2:3], v[12:13], v[2:3]
	v_pk_fma_f32 v[50:51], v[62:63], s[16:17], v[48:49] op_sel_hi:[1,0,1]
	v_pk_fma_f32 v[48:49], v[62:63], s[16:17], v[48:49] op_sel_hi:[1,0,1] neg_lo:[0,0,1] neg_hi:[0,0,1]
	v_pk_mul_f32 v[58:59], v[60:61], s[38:39] op_sel:[1,0] op_sel_hi:[0,0]
	v_pk_fma_f32 v[62:63], v[18:19], s[18:19], v[28:29] op_sel_hi:[1,0,1]
	v_pk_fma_f32 v[18:19], v[18:19], s[18:19], v[28:29] op_sel_hi:[1,0,1] neg_lo:[0,0,1] neg_hi:[0,0,1]
	v_mov_b32_e32 v30, v64
	v_mov_b32_e32 v31, v25
	v_pk_add_f32 v[14:15], v[34:35], v[14:15]
	v_mov_b32_e32 v25, v65
	v_pk_add_f32 v[2:3], v[32:33], v[2:3]
	v_pk_fma_f32 v[60:61], v[36:37], s[8:9], v[58:59] op_sel_hi:[1,0,1]
	v_pk_fma_f32 v[36:37], v[36:37], s[8:9], v[58:59] op_sel_hi:[1,0,1] neg_lo:[0,0,1] neg_hi:[0,0,1]
	v_mov_b32_e32 v28, v62
	v_mov_b32_e32 v29, v19
	v_pk_add_f32 v[14:15], v[30:31], v[14:15]
	v_mov_b32_e32 v19, v63
	v_pk_add_f32 v[2:3], v[24:25], v[2:3]
	v_mov_b32_e32 v58, v60
	v_mov_b32_e32 v59, v37
	v_pk_add_f32 v[14:15], v[28:29], v[14:15]
	v_mov_b32_e32 v37, v61
	v_pk_add_f32 v[2:3], v[18:19], v[2:3]
	;; [unrolled: 5-line block ×3, first 2 shown]
	global_store_dwordx2 v[104:105], v[46:47], off
	v_mov_b32_e32 v46, v42
	v_mov_b32_e32 v47, v27
	v_pk_add_f32 v[14:15], v[56:57], v[14:15]
	v_mov_b32_e32 v27, v43
	v_pk_add_f32 v[2:3], v[48:49], v[2:3]
	v_pk_add_f32 v[14:15], v[46:47], v[14:15]
	;; [unrolled: 1-line block ×3, first 2 shown]
	v_pk_mul_f32 v[10:11], v[14:15], v[10:11] op_sel_hi:[1,0]
	v_pk_mul_f32 v[6:7], v[2:3], v[6:7] op_sel_hi:[1,0]
	v_pk_fma_f32 v[28:29], v[14:15], v[8:9], v[10:11] op_sel:[0,0,1] op_sel_hi:[1,1,0] neg_lo:[0,0,1] neg_hi:[0,0,1]
	v_pk_fma_f32 v[8:9], v[14:15], v[8:9], v[10:11] op_sel:[0,0,1] op_sel_hi:[1,0,0]
	v_pk_fma_f32 v[10:11], v[2:3], v[4:5], v[6:7] op_sel:[0,0,1] op_sel_hi:[1,1,0] neg_lo:[0,0,1] neg_hi:[0,0,1]
	v_pk_fma_f32 v[2:3], v[2:3], v[4:5], v[6:7] op_sel:[0,0,1] op_sel_hi:[1,0,0]
	v_mov_b32_e32 v29, v9
	v_mov_b32_e32 v11, v3
	;; [unrolled: 1-line block ×9, first 2 shown]
	global_store_dwordx2 v[92:93], v[10:11], off
	global_store_dwordx2 v[90:91], v[28:29], off
	global_store_dwordx2 v[88:89], v[76:77], off
	global_store_dwordx2 v[86:87], v[102:103], off
	global_store_dwordx2 v[84:85], v[54:55], off
	global_store_dwordx2 v[82:83], v[70:71], off
	global_store_dwordx2 v[80:81], v[96:97], off
	global_store_dwordx2 v[38:39], v[98:99], off
	global_store_dwordx2 v[0:1], v[16:17], off
.LBB0_48:
	s_endpgm
	.section	.rodata,"a",@progbits
	.p2align	6, 0x0
	.amdhsa_kernel fft_rtc_fwd_len289_factors_17_17_wgs_119_tpt_17_sp_op_CI_CI_sbcc_twdbase8_2step_dirReg_intrinsicRead
		.amdhsa_group_segment_fixed_size 0
		.amdhsa_private_segment_fixed_size 0
		.amdhsa_kernarg_size 112
		.amdhsa_user_sgpr_count 2
		.amdhsa_user_sgpr_dispatch_ptr 0
		.amdhsa_user_sgpr_queue_ptr 0
		.amdhsa_user_sgpr_kernarg_segment_ptr 1
		.amdhsa_user_sgpr_dispatch_id 0
		.amdhsa_user_sgpr_kernarg_preload_length 0
		.amdhsa_user_sgpr_kernarg_preload_offset 0
		.amdhsa_user_sgpr_private_segment_size 0
		.amdhsa_uses_dynamic_stack 0
		.amdhsa_enable_private_segment 0
		.amdhsa_system_sgpr_workgroup_id_x 1
		.amdhsa_system_sgpr_workgroup_id_y 0
		.amdhsa_system_sgpr_workgroup_id_z 0
		.amdhsa_system_sgpr_workgroup_info 0
		.amdhsa_system_vgpr_workitem_id 0
		.amdhsa_next_free_vgpr 264
		.amdhsa_next_free_sgpr 70
		.amdhsa_accum_offset 256
		.amdhsa_reserve_vcc 1
		.amdhsa_float_round_mode_32 0
		.amdhsa_float_round_mode_16_64 0
		.amdhsa_float_denorm_mode_32 3
		.amdhsa_float_denorm_mode_16_64 3
		.amdhsa_dx10_clamp 1
		.amdhsa_ieee_mode 1
		.amdhsa_fp16_overflow 0
		.amdhsa_tg_split 0
		.amdhsa_exception_fp_ieee_invalid_op 0
		.amdhsa_exception_fp_denorm_src 0
		.amdhsa_exception_fp_ieee_div_zero 0
		.amdhsa_exception_fp_ieee_overflow 0
		.amdhsa_exception_fp_ieee_underflow 0
		.amdhsa_exception_fp_ieee_inexact 0
		.amdhsa_exception_int_div_zero 0
	.end_amdhsa_kernel
	.text
.Lfunc_end0:
	.size	fft_rtc_fwd_len289_factors_17_17_wgs_119_tpt_17_sp_op_CI_CI_sbcc_twdbase8_2step_dirReg_intrinsicRead, .Lfunc_end0-fft_rtc_fwd_len289_factors_17_17_wgs_119_tpt_17_sp_op_CI_CI_sbcc_twdbase8_2step_dirReg_intrinsicRead
                                        ; -- End function
	.section	.AMDGPU.csdata,"",@progbits
; Kernel info:
; codeLenInByte = 14048
; NumSgprs: 76
; NumVgprs: 256
; NumAgprs: 8
; TotalNumVgprs: 264
; ScratchSize: 0
; MemoryBound: 0
; FloatMode: 240
; IeeeMode: 1
; LDSByteSize: 0 bytes/workgroup (compile time only)
; SGPRBlocks: 9
; VGPRBlocks: 32
; NumSGPRsForWavesPerEU: 76
; NumVGPRsForWavesPerEU: 264
; AccumOffset: 256
; Occupancy: 1
; WaveLimiterHint : 1
; COMPUTE_PGM_RSRC2:SCRATCH_EN: 0
; COMPUTE_PGM_RSRC2:USER_SGPR: 2
; COMPUTE_PGM_RSRC2:TRAP_HANDLER: 0
; COMPUTE_PGM_RSRC2:TGID_X_EN: 1
; COMPUTE_PGM_RSRC2:TGID_Y_EN: 0
; COMPUTE_PGM_RSRC2:TGID_Z_EN: 0
; COMPUTE_PGM_RSRC2:TIDIG_COMP_CNT: 0
; COMPUTE_PGM_RSRC3_GFX90A:ACCUM_OFFSET: 63
; COMPUTE_PGM_RSRC3_GFX90A:TG_SPLIT: 0
	.text
	.p2alignl 6, 3212836864
	.fill 256, 4, 3212836864
	.type	__hip_cuid_97531ddfface63b0,@object ; @__hip_cuid_97531ddfface63b0
	.section	.bss,"aw",@nobits
	.globl	__hip_cuid_97531ddfface63b0
__hip_cuid_97531ddfface63b0:
	.byte	0                               ; 0x0
	.size	__hip_cuid_97531ddfface63b0, 1

	.ident	"AMD clang version 19.0.0git (https://github.com/RadeonOpenCompute/llvm-project roc-6.4.0 25133 c7fe45cf4b819c5991fe208aaa96edf142730f1d)"
	.section	".note.GNU-stack","",@progbits
	.addrsig
	.addrsig_sym __hip_cuid_97531ddfface63b0
	.amdgpu_metadata
---
amdhsa.kernels:
  - .agpr_count:     8
    .args:
      - .actual_access:  read_only
        .address_space:  global
        .offset:         0
        .size:           8
        .value_kind:     global_buffer
      - .address_space:  global
        .offset:         8
        .size:           8
        .value_kind:     global_buffer
      - .offset:         16
        .size:           8
        .value_kind:     by_value
      - .actual_access:  read_only
        .address_space:  global
        .offset:         24
        .size:           8
        .value_kind:     global_buffer
      - .actual_access:  read_only
        .address_space:  global
        .offset:         32
        .size:           8
        .value_kind:     global_buffer
      - .actual_access:  read_only
        .address_space:  global
        .offset:         40
        .size:           8
        .value_kind:     global_buffer
      - .offset:         48
        .size:           8
        .value_kind:     by_value
      - .actual_access:  read_only
        .address_space:  global
        .offset:         56
        .size:           8
        .value_kind:     global_buffer
      - .actual_access:  read_only
        .address_space:  global
        .offset:         64
        .size:           8
        .value_kind:     global_buffer
      - .offset:         72
        .size:           4
        .value_kind:     by_value
      - .actual_access:  read_only
        .address_space:  global
        .offset:         80
        .size:           8
        .value_kind:     global_buffer
      - .actual_access:  read_only
        .address_space:  global
        .offset:         88
        .size:           8
        .value_kind:     global_buffer
      - .actual_access:  read_only
        .address_space:  global
        .offset:         96
        .size:           8
        .value_kind:     global_buffer
      - .actual_access:  write_only
        .address_space:  global
        .offset:         104
        .size:           8
        .value_kind:     global_buffer
    .group_segment_fixed_size: 0
    .kernarg_segment_align: 8
    .kernarg_segment_size: 112
    .language:       OpenCL C
    .language_version:
      - 2
      - 0
    .max_flat_workgroup_size: 119
    .name:           fft_rtc_fwd_len289_factors_17_17_wgs_119_tpt_17_sp_op_CI_CI_sbcc_twdbase8_2step_dirReg_intrinsicRead
    .private_segment_fixed_size: 0
    .sgpr_count:     76
    .sgpr_spill_count: 0
    .symbol:         fft_rtc_fwd_len289_factors_17_17_wgs_119_tpt_17_sp_op_CI_CI_sbcc_twdbase8_2step_dirReg_intrinsicRead.kd
    .uniform_work_group_size: 1
    .uses_dynamic_stack: false
    .vgpr_count:     264
    .vgpr_spill_count: 0
    .wavefront_size: 64
amdhsa.target:   amdgcn-amd-amdhsa--gfx950
amdhsa.version:
  - 1
  - 2
...

	.end_amdgpu_metadata
